;; amdgpu-corpus repo=ROCm/aiter kind=harvested arch=n/a opt=n/a

/root/src/amdgpu-assembly/repos/ROCm__aiter/hsa/gfx942/fmoe_2stages/fmoe_stage1_bf16_pertokenFp8_doweight_g1u1_32x256_2tg_pf3.co:	file format elf64-amdgpu

Disassembly of section .text:

0000000000002a00 <_ZN5aiter57fmoe_stage1_bf16_pertokenFp8_doweight_g1u1_32x256_2tg_pf3E>:
	s_and_b32 s1, s1, 0xffff                                   // 000000002A00: 8601FF01 0000FFFF
	s_load_dwordx2 s[8:9], s[0:1], 0x0                         // 000000002A08: C0060200 00000000
	s_load_dwordx2 s[20:21], s[0:1], 0x10                      // 000000002A10: C0060500 00000010
	s_load_dwordx2 s[24:25], s[0:1], 0x20                      // 000000002A18: C0060600 00000020
	s_load_dwordx2 s[48:49], s[0:1], 0x30                      // 000000002A20: C0060C00 00000030
	s_load_dwordx2 s[28:29], s[0:1], 0x40                      // 000000002A28: C0060700 00000040
	s_load_dwordx2 s[32:33], s[0:1], 0x50                      // 000000002A30: C0060800 00000050
	s_load_dwordx2 s[36:37], s[0:1], 0x60                      // 000000002A38: C0060900 00000060
	s_load_dwordx2 s[12:13], s[0:1], 0x70                      // 000000002A40: C0060300 00000070
	s_load_dwordx2 s[44:45], s[0:1], 0x80                      // 000000002A48: C0060B00 00000080
	s_mov_b32 s89, 0                                           // 000000002A50: BED90080
	s_load_dword s64, s[0:1], 0x90                             // 000000002A54: C0021000 00000090
	s_load_dword s65, s[0:1], 0xa0                             // 000000002A5C: C0021040 000000A0
	s_load_dword s66, s[0:1], 0xb0                             // 000000002A64: C0021080 000000B0
	s_load_dword s67, s[0:1], 0xc0                             // 000000002A6C: C00210C0 000000C0
	s_load_dword s68, s[0:1], 0xd0                             // 000000002A74: C0021100 000000D0
	s_load_dword s69, s[0:1], 0xe0                             // 000000002A7C: C0021140 000000E0
	s_load_dword s71, s[0:1], 0xf0                             // 000000002A84: C00211C0 000000F0
	s_load_dword s72, s[0:1], 0x100                            // 000000002A8C: C0021200 00000100
	s_load_dword s74, s[0:1], 0x110                            // 000000002A94: C0021280 00000110
	s_load_dword s76, s[0:1], 0x120                            // 000000002A9C: C0021300 00000120
	s_load_dword s56, s[0:1], 0x130                            // 000000002AA4: C0020E00 00000130
	s_load_dword s88, s[0:1], 0x140                            // 000000002AAC: C0021600 00000140
	s_load_dword s89, s[0:1], 0x150                            // 000000002AB4: C0021640 00000150
	s_load_dwordx2 s[40:41], s[0:1], 0x160                     // 000000002ABC: C0060A00 00000160
	v_lshrrev_b32_e32 v1, 10, v0                               // 000000002AC4: 2002008A
	v_lshrrev_b32_e32 v2, 10, v1                               // 000000002AC8: 2004028A
	v_and_b32_e32 v2, 0x3ff, v2                                // 000000002ACC: 260404FF 000003FF
	v_and_b32_e32 v1, 0x3ff, v1                                // 000000002AD4: 260202FF 000003FF
	v_and_b32_e32 v0, 0x3ff, v0                                // 000000002ADC: 260000FF 000003FF
	v_lshrrev_b32_e32 v3, 6, v0                                // 000000002AE4: 20060086
	v_and_b32_e32 v0, 63, v0                                   // 000000002AE8: 260000BF
	s_mov_b32 s2, s2                                           // 000000002AEC: BE820002
	s_mov_b32 s3, s3                                           // 000000002AF0: BE830003
	s_mov_b32 s4, s4                                           // 000000002AF4: BE840004
	v_readfirstlane_b32 s7, v3                                 // 000000002AF8: 7E0E0503
	s_waitcnt lgkmcnt(0)                                       // 000000002AFC: BF8CC07F
	s_and_b32 s49, s49, 0xffff                                 // 000000002B00: 8631FF31 0000FFFF
	s_load_dword s48, s[48:49], 0x0                            // 000000002B08: C0020C18 00000000
	s_and_b32 s45, s45, 0xffff                                 // 000000002B10: 862DFF2D 0000FFFF
	s_and_b32 s9, s9, 0xffff                                   // 000000002B18: 8609FF09 0000FFFF
	s_mul_i32 s60, s66, s68                                    // 000000002B20: 923C4442
	s_mul_i32 s61, s66, 4                                      // 000000002B24: 923D8442
	s_mov_b32 s22, s60                                         // 000000002B28: BE96003C
	s_mov_b32 s26, -16                                         // 000000002B2C: BE9A00D0
	s_mov_b32 s30, s61                                         // 000000002B30: BE9E003D
	s_mov_b32 s14, 0x80                                        // 000000002B34: BE8E00FF 00000080
	s_mov_b32 s38, -16                                         // 000000002B3C: BEA600D0
	s_mov_b32 s10, -16                                         // 000000002B40: BE8A00D0
	s_mov_b32 s34, 0x400                                       // 000000002B44: BEA200FF 00000400
	s_mov_b32 s23, 0x20000                                     // 000000002B4C: BE9700FF 00020000
	s_mov_b32 s27, 0x20000                                     // 000000002B54: BE9B00FF 00020000
	s_mov_b32 s31, 0x20000                                     // 000000002B5C: BE9F00FF 00020000
	s_mov_b32 s35, 0x20000                                     // 000000002B64: BEA300FF 00020000
	s_mov_b32 s15, 0x20000                                     // 000000002B6C: BE8F00FF 00020000
	s_mov_b32 s39, 0x20000                                     // 000000002B74: BEA700FF 00020000
	s_mov_b32 s11, 0x20000                                     // 000000002B7C: BE8B00FF 00020000
	s_and_b32 s21, s21, 0xffff                                 // 000000002B84: 8615FF15 0000FFFF
	s_and_b32 s25, s25, 0xffff                                 // 000000002B8C: 8619FF19 0000FFFF
	s_and_b32 s29, s29, 0xffff                                 // 000000002B94: 861DFF1D 0000FFFF
	s_and_b32 s33, s33, 0xffff                                 // 000000002B9C: 8621FF21 0000FFFF
	s_and_b32 s13, s13, 0xffff                                 // 000000002BA4: 860DFF0D 0000FFFF
	s_and_b32 s37, s37, 0xffff                                 // 000000002BAC: 8625FF25 0000FFFF
	s_or_b32 s21, s21, 0x40000                                 // 000000002BB4: 8715FF15 00040000
	s_or_b32 s25, s25, 0x40000                                 // 000000002BBC: 8719FF19 00040000
	s_or_b32 s29, s29, 0x40000                                 // 000000002BC4: 871DFF1D 00040000
	s_or_b32 s33, s33, 0x40000                                 // 000000002BCC: 8721FF21 00040000
	s_or_b32 s13, s13, 0x40000                                 // 000000002BD4: 870DFF0D 00040000
	s_or_b32 s37, s37, 0x40000                                 // 000000002BDC: 8725FF25 00040000
	s_mov_b32 s42, -16                                         // 000000002BE4: BEAA00D0
	s_mov_b32 s43, 0x20000                                     // 000000002BE8: BEAB00FF 00020000
	s_and_b32 s41, s41, 0xffff                                 // 000000002BF0: 8629FF29 0000FFFF
	s_or_b32 s41, s41, 0x40000                                 // 000000002BF8: 8729FF29 00040000
	v_accvgpr_write_b32 a127, 0                                // 000000002C00: D3D9407F 18000080
	v_mov_b32_e32 v113, 0                                      // 000000002C08: 7EE20280
	s_waitcnt lgkmcnt(0)                                       // 000000002C0C: BF8CC07F
	s_mul_i32 s60, s3, 32                                      // 000000002C10: 923CA003
	s_cmp_lt_i32 s60, s48                                      // 000000002C14: BF04303C
	s_cbranch_scc0 label_1B35                                  // 000000002C18: BF841AAB
	s_mov_b32 s80, 0                                           // 000000002C1C: BED00080
	s_lshr_b32 s81, s64, s88                                   // 000000002C20: 8F515840
	s_mul_i32 s60, s3, 4                                       // 000000002C24: 923C8403
	s_add_u32 s44, s60, s44                                    // 000000002C28: 802C2C3C
	s_addc_u32 s45, 0, s45                                     // 000000002C2C: 822D2D80
	s_load_dword s5, s[44:45], 0x0                             // 000000002C30: C0020156 00000000
	s_mul_i32 s60, s3, 32                                      // 000000002C38: 923CA003
	s_mul_i32 s60, 4, s60                                      // 000000002C3C: 923C3C84
	s_add_u32 s12, s60, s12                                    // 000000002C40: 800C0C3C
	s_addc_u32 s13, 0, s13                                     // 000000002C44: 820D0D80
	v_and_b32_e32 v4, 15, v0                                   // 000000002C48: 2608008F
	v_lshlrev_b32_e32 v4, 2, v4                                // 000000002C4C: 24080882
	buffer_load_dword v30, v4, s[12:15], 0 offen               // 000000002C50: E0501000 80031E04
	v_add_u32_e32 v4, 64, v4                                   // 000000002C58: 680808C0
	buffer_load_dword v31, v4, s[12:15], 0 offen               // 000000002C5C: E0501000 80031F04
	v_add_u32_e32 v4, 64, v4                                   // 000000002C64: 680808C0
	s_mul_i32 s60, 4, s7                                       // 000000002C68: 923C0784
	v_lshlrev_b32_e32 v4, 4, v0                                // 000000002C6C: 24080084
	v_add_u32_e32 v4, s60, v4                                  // 000000002C70: 6808083C
	buffer_load_dword v3, v4, s[12:15], 0 offen                // 000000002C74: E0501000 80030304
	v_mov_b32_e32 v48, 0                                       // 000000002C7C: 7E600280
	v_mov_b32_e32 v80, 0                                       // 000000002C80: 7EA00280
	v_mov_b32_e32 v49, 0                                       // 000000002C84: 7E620280
	v_mov_b32_e32 v81, 0                                       // 000000002C88: 7EA20280
	v_mov_b32_e32 v50, 0                                       // 000000002C8C: 7E640280
	v_mov_b32_e32 v82, 0                                       // 000000002C90: 7EA40280
	v_mov_b32_e32 v51, 0                                       // 000000002C94: 7E660280
	v_mov_b32_e32 v83, 0                                       // 000000002C98: 7EA60280
	v_mov_b32_e32 v52, 0                                       // 000000002C9C: 7E680280
	v_mov_b32_e32 v84, 0                                       // 000000002CA0: 7EA80280
	v_mov_b32_e32 v53, 0                                       // 000000002CA4: 7E6A0280
	v_mov_b32_e32 v85, 0                                       // 000000002CA8: 7EAA0280
	v_mov_b32_e32 v54, 0                                       // 000000002CAC: 7E6C0280
	v_mov_b32_e32 v86, 0                                       // 000000002CB0: 7EAC0280
	v_mov_b32_e32 v55, 0                                       // 000000002CB4: 7E6E0280
	v_mov_b32_e32 v87, 0                                       // 000000002CB8: 7EAE0280
	v_mov_b32_e32 v56, 0                                       // 000000002CBC: 7E700280
	v_mov_b32_e32 v88, 0                                       // 000000002CC0: 7EB00280
	v_mov_b32_e32 v57, 0                                       // 000000002CC4: 7E720280
	v_mov_b32_e32 v89, 0                                       // 000000002CC8: 7EB20280
	v_mov_b32_e32 v58, 0                                       // 000000002CCC: 7E740280
	v_mov_b32_e32 v90, 0                                       // 000000002CD0: 7EB40280
	v_mov_b32_e32 v59, 0                                       // 000000002CD4: 7E760280
	v_mov_b32_e32 v91, 0                                       // 000000002CD8: 7EB60280
	v_mov_b32_e32 v60, 0                                       // 000000002CDC: 7E780280
	v_mov_b32_e32 v92, 0                                       // 000000002CE0: 7EB80280
	v_mov_b32_e32 v61, 0                                       // 000000002CE4: 7E7A0280
	v_mov_b32_e32 v93, 0                                       // 000000002CE8: 7EBA0280
	v_mov_b32_e32 v62, 0                                       // 000000002CEC: 7E7C0280
	v_mov_b32_e32 v94, 0                                       // 000000002CF0: 7EBC0280
	v_mov_b32_e32 v63, 0                                       // 000000002CF4: 7E7E0280
	v_mov_b32_e32 v95, 0                                       // 000000002CF8: 7EBE0280
	v_mov_b32_e32 v64, 0                                       // 000000002CFC: 7E800280
	v_mov_b32_e32 v96, 0                                       // 000000002D00: 7EC00280
	v_mov_b32_e32 v65, 0                                       // 000000002D04: 7E820280
	v_mov_b32_e32 v97, 0                                       // 000000002D08: 7EC20280
	v_mov_b32_e32 v66, 0                                       // 000000002D0C: 7E840280
	v_mov_b32_e32 v98, 0                                       // 000000002D10: 7EC40280
	v_mov_b32_e32 v67, 0                                       // 000000002D14: 7E860280
	v_mov_b32_e32 v99, 0                                       // 000000002D18: 7EC60280
	v_mov_b32_e32 v68, 0                                       // 000000002D1C: 7E880280
	v_mov_b32_e32 v100, 0                                      // 000000002D20: 7EC80280
	v_mov_b32_e32 v69, 0                                       // 000000002D24: 7E8A0280
	v_mov_b32_e32 v101, 0                                      // 000000002D28: 7ECA0280
	v_mov_b32_e32 v70, 0                                       // 000000002D2C: 7E8C0280
	v_mov_b32_e32 v102, 0                                      // 000000002D30: 7ECC0280
	v_mov_b32_e32 v71, 0                                       // 000000002D34: 7E8E0280
	v_mov_b32_e32 v103, 0                                      // 000000002D38: 7ECE0280
	v_mov_b32_e32 v72, 0                                       // 000000002D3C: 7E900280
	v_mov_b32_e32 v104, 0                                      // 000000002D40: 7ED00280
	v_mov_b32_e32 v73, 0                                       // 000000002D44: 7E920280
	v_mov_b32_e32 v105, 0                                      // 000000002D48: 7ED20280
	v_mov_b32_e32 v74, 0                                       // 000000002D4C: 7E940280
	v_mov_b32_e32 v106, 0                                      // 000000002D50: 7ED40280
	v_mov_b32_e32 v75, 0                                       // 000000002D54: 7E960280
	v_mov_b32_e32 v107, 0                                      // 000000002D58: 7ED60280
	v_mov_b32_e32 v76, 0                                       // 000000002D5C: 7E980280
	v_mov_b32_e32 v108, 0                                      // 000000002D60: 7ED80280
	v_mov_b32_e32 v77, 0                                       // 000000002D64: 7E9A0280
	v_mov_b32_e32 v109, 0                                      // 000000002D68: 7EDA0280
	v_mov_b32_e32 v78, 0                                       // 000000002D6C: 7E9C0280
	v_mov_b32_e32 v110, 0                                      // 000000002D70: 7EDC0280
	v_mov_b32_e32 v79, 0                                       // 000000002D74: 7E9E0280
	v_mov_b32_e32 v111, 0                                      // 000000002D78: 7EDE0280
	s_mul_i32 s60, s2, 0x200                                   // 000000002D7C: 923CFF02 00000200
	s_cmp_eq_u32 s88, 0                                        // 000000002D84: BF068058
	s_cselect_b32 s61, 1, 2                                    // 000000002D88: 853D8281
	s_mul_i32 s60, s60, s61                                    // 000000002D8C: 923C3D3C
	s_mov_b32 s90, s8                                          // 000000002D90: BEDA0008
	s_mov_b32 s91, s9                                          // 000000002D94: BEDB0009
	s_add_u32 s8, s60, s8                                      // 000000002D98: 8008083C
	s_addc_u32 s9, 0, s9                                       // 000000002D9C: 82090980
	v_lshrrev_b32_e32 v4, 4, v0                                // 000000002DA0: 20080084
	v_mul_lo_u32 v20, 34, v4                                   // 000000002DA4: D2850014 000208A2
	v_and_b32_e32 v4, 15, v0                                   // 000000002DAC: 2608008F
	v_mul_lo_u32 v5, 2, v4                                     // 000000002DB0: D2850005 00020882
	v_add_u32_e32 v20, v5, v20                                 // 000000002DB8: 68282905
	s_mul_i32 s60, s7, 0x88                                    // 000000002DBC: 923CFF07 00000088
	v_add_u32_e32 v20, s60, v20                                // 000000002DC4: 6828283C
	v_lshlrev_b32_e32 v20, 2, v20                              // 000000002DC8: 24282882
	v_and_b32_e32 v4, 31, v0                                   // 000000002DCC: 2608009F
	v_lshrrev_b32_e32 v4, 1, v4                                // 000000002DD0: 20080881
	v_mul_lo_u32 v21, 34, v4                                   // 000000002DD4: D2850015 000208A2
	v_lshrrev_b32_e32 v4, 5, v0                                // 000000002DDC: 20080085
	v_mul_lo_u32 v4, 8, v4                                     // 000000002DE0: D2850004 00020888
	v_add_u32_e32 v21, v21, v4                                 // 000000002DE8: 682A0915
	v_and_b32_e32 v5, 1, v0                                    // 000000002DEC: 260A0081
	v_add_u32_e32 v21, v5, v21                                 // 000000002DF0: 682A2B05
	s_mul_i32 s60, s7, 2                                       // 000000002DF4: 923C8207
	v_add_u32_e32 v21, s60, v21                                // 000000002DF8: 682A2A3C
	v_lshlrev_b32_e32 v21, 2, v21                              // 000000002DFC: 242A2A82
	s_mul_i32 s60, s7, 0x420                                   // 000000002E00: 923CFF07 00000420
	s_add_u32 s48, 0, s60                                      // 000000002E08: 80303C80
	s_add_u32 s49, 0x1080, s48                                 // 000000002E0C: 803130FF 00001080
	s_add_u32 s50, 0x1080, s49                                 // 000000002E14: 803231FF 00001080
	v_lshrrev_b32_e32 v4, 4, v0                                // 000000002E1C: 20080084
	v_lshlrev_b32_e32 v5, 2, v4                                // 000000002E20: 240A0882
	v_and_b32_e32 v4, 15, v0                                   // 000000002E24: 2608008F
	v_lshrrev_b32_e32 v6, 2, v4                                // 000000002E28: 200C0882
	v_lshlrev_b32_e32 v6, 5, v6                                // 000000002E2C: 240C0C85
	v_add_u32_e32 v5, v6, v5                                   // 000000002E30: 680A0B06
	v_and_b32_e32 v4, 3, v0                                    // 000000002E34: 26080083
	v_mul_u32_u24_e32 v6, 0x108, v4                            // 000000002E38: 100C08FF 00000108
	v_add_u32_e32 v5, v6, v5                                   // 000000002E40: 680A0B06
	v_lshlrev_b32_e32 v2, 2, v5                                // 000000002E44: 24040A82
	s_waitcnt lgkmcnt(0)                                       // 000000002E48: BF8CC07F
	s_mul_i32 s60, s2, 0x100                                   // 000000002E4C: 923CFF02 00000100
	s_mul_i32 s60, s60, s69                                    // 000000002E54: 923C453C
	s_mul_i32 s61, s5, s72                                     // 000000002E58: 923D4805
	s_add_u32 s60, s61, s60                                    // 000000002E5C: 803C3C3D
	s_add_u32 s24, s60, s24                                    // 000000002E60: 8018183C
	s_addc_u32 s25, 0, s25                                     // 000000002E64: 82191980
	s_lshr_b32 s60, s64, s88                                   // 000000002E68: 8F3C5840
	s_mul_i32 s60, s4, s60                                     // 000000002E6C: 923C3C04
	s_lshr_b32 s60, s60, 7                                     // 000000002E70: 8F3C873C
	s_mul_i32 s60, s60, 0x800                                  // 000000002E74: 923CFF3C 00000800
	s_add_u32 s24, s60, s24                                    // 000000002E7C: 8018183C
	s_addc_u32 s25, 0, s25                                     // 000000002E80: 82191980
	s_lshr_b32 s60, s69, s88                                   // 000000002E84: 8F3C5845
	s_mul_i32 s60, s4, s60                                     // 000000002E88: 923C3C04
	s_add_u32 s20, s60, s20                                    // 000000002E8C: 8014143C
	s_addc_u32 s21, 0, s21                                     // 000000002E90: 82151580
	s_mul_i32 s60, s7, 16                                      // 000000002E94: 923C9007
	s_mul_i32 s60, s60, s69                                    // 000000002E98: 923C453C
	v_lshlrev_b32_e32 v42, 4, v0                               // 000000002E9C: 24540084
	v_add_u32_e32 v42, s60, v42                                // 000000002EA0: 6854543C
	s_mul_i32 s60, 64, s69                                     // 000000002EA4: 923C45C0
	v_add_u32_e32 v43, s60, v42                                // 000000002EA8: 6856543C
	v_add_u32_e32 v44, s60, v43                                // 000000002EAC: 6858563C
	v_add_u32_e32 v45, s60, v44                                // 000000002EB0: 685A583C
	s_mov_b32 s84, s24                                         // 000000002EB4: BED40018
	s_mov_b32 s85, s25                                         // 000000002EB8: BED50019
	s_mov_b32 s86, s26                                         // 000000002EBC: BED6001A
	s_mov_b32 s87, s27                                         // 000000002EC0: BED7001B
	s_mul_i32 s60, s69, s65                                    // 000000002EC4: 923C4145
	s_add_u32 s84, s60, s84                                    // 000000002EC8: 8054543C
	s_addc_u32 s85, 0, s85                                     // 000000002ECC: 82555580
	v_lshrrev_b32_e32 v4, 4, v0                                // 000000002ED0: 20080084
	v_lshlrev_b32_e32 v5, 2, v4                                // 000000002ED4: 240A0882
	v_and_b32_e32 v4, 15, v0                                   // 000000002ED8: 2608008F
	v_lshrrev_b32_e32 v6, 2, v4                                // 000000002EDC: 200C0882
	v_lshlrev_b32_e32 v6, 6, v6                                // 000000002EE0: 240C0C86
	v_add_u32_e32 v5, v6, v5                                   // 000000002EE4: 680A0B06
	v_and_b32_e32 v4, 3, v0                                    // 000000002EE8: 26080083
	v_add_u32_e32 v5, v4, v5                                   // 000000002EEC: 680A0B04
	v_lshlrev_b32_e32 v22, 2, v5                               // 000000002EF0: 242C0A82
	s_mul_i32 s60, s7, 16                                      // 000000002EF4: 923C9007
	s_mul_i32 s60, s60, 4                                      // 000000002EF8: 923C843C
	v_add_u32_e32 v22, s60, v22                                // 000000002EFC: 682C2C3C
	s_mul_i32 s60, s2, 0x100                                   // 000000002F00: 923CFF02 00000100
	s_mul_i32 s60, s60, 4                                      // 000000002F08: 923C843C
	s_mul_i32 s61, s5, s74                                     // 000000002F0C: 923D4A05
	s_add_u32 s61, s61, s60                                    // 000000002F10: 803D3C3D
	s_add_u32 s32, s61, s32                                    // 000000002F14: 8020203D
	s_addc_u32 s33, 0, s33                                     // 000000002F18: 82212180
	s_mov_b32 s57, 0x80                                        // 000000002F1C: BEB900FF 00000080
	s_mov_b32 s58, 0x800                                       // 000000002F24: BEBA00FF 00000800
	s_mov_b32 s83, s58                                         // 000000002F2C: BED3003A
	s_mov_b32 s52, 0x7060302                                   // 000000002F30: BEB400FF 07060302
	s_mov_b32 s53, 0x400                                       // 000000002F38: BEB500FF 00000400
	s_mov_b32 s54, 0x40100                                     // 000000002F40: BEB600FF 00040100
	s_mov_b32 s55, 0x4020100                                   // 000000002F48: BEB700FF 04020100
	s_mov_b32 s6, 0x3fb8aa3b                                   // 000000002F50: BE8600FF 3FB8AA3B
	s_mov_b32 s78, 0xbd92220c                                  // 000000002F58: BECE00FF BD92220C
	s_mov_b32 s79, 0xbd92220c                                  // 000000002F60: BECF00FF BD92220C
	s_mov_b32 m0, s48                                          // 000000002F68: BEFC0030
	v_mov_b32_e32 v1, 0xbfcc4231                               // 000000002F6C: 7E0202FF BFCC4231
	v_mov_b32_e32 v17, 0xffff0000                              // 000000002F74: 7E2202FF FFFF0000
	v_mov_b32_e32 v18, 0x7fff0000                              // 000000002F7C: 7E2402FF 7FFF0000
	v_mov_b32_e32 v19, 0x7fff                                  // 000000002F84: 7E2602FF 00007FFF
	s_waitcnt vmcnt(0) expcnt(0) lgkmcnt(0)                    // 000000002F8C: BF8C0000
	s_mul_i32 s60, s3, 32                                      // 000000002F90: 923CA003
	s_mul_i32 s60, 4, s60                                      // 000000002F94: 923C3C84
	s_add_u32 s40, s60, s40                                    // 000000002F98: 8028283C
	s_addc_u32 s41, 0, s41                                     // 000000002F9C: 82292980
	v_and_b32_e32 v4, 15, v0                                   // 000000002FA0: 2608008F
	v_lshlrev_b32_e32 v4, 2, v4                                // 000000002FA4: 24080882
	buffer_load_dword v112, v4, s[40:43], 0 offen              // 000000002FA8: E0501000 800A7004
	buffer_load_dword v113, v4, s[40:43], 0 offen offset:64    // 000000002FB0: E0501040 800A7104
	v_lshrrev_b32_e32 v4, 5, v0                                // 000000002FB8: 20080085
	v_xor_b32_e32 v5, 1, v4                                    // 000000002FBC: 2A0A0881
	v_readlane_b32 s82, v3, 0                                  // 000000002FC0: D2890052 00010103
	s_and_b32 s82, s82, 0xffffff                               // 000000002FC8: 8652FF52 00FFFFFF
	v_mul_lo_u32 v6, v5, s82                                   // 000000002FD0: D2850006 0000A505
	v_readlane_b32 s82, v3, 1                                  // 000000002FD8: D2890052 00010303
	s_and_b32 s82, s82, 0xffffff                               // 000000002FE0: 8652FF52 00FFFFFF
	v_mul_lo_u32 v7, v4, s82                                   // 000000002FE8: D2850007 0000A504
	v_add_u32_e32 v38, v6, v7                                  // 000000002FF0: 684C0F06
	v_mul_lo_u32 v38, v38, s68                                 // 000000002FF4: D2850026 00008926
	v_readlane_b32 s82, v3, 2                                  // 000000002FFC: D2890052 00010503
	s_and_b32 s82, s82, 0xffffff                               // 000000003004: 8652FF52 00FFFFFF
	v_mul_lo_u32 v6, v5, s82                                   // 00000000300C: D2850006 0000A505
	v_readlane_b32 s82, v3, 3                                  // 000000003014: D2890052 00010703
	s_and_b32 s82, s82, 0xffffff                               // 00000000301C: 8652FF52 00FFFFFF
	v_mul_lo_u32 v7, v4, s82                                   // 000000003024: D2850007 0000A504
	v_add_u32_e32 v39, v6, v7                                  // 00000000302C: 684E0F06
	v_mul_lo_u32 v39, v39, s68                                 // 000000003030: D2850027 00008927
	v_readlane_b32 s82, v3, 4                                  // 000000003038: D2890052 00010903
	s_and_b32 s82, s82, 0xffffff                               // 000000003040: 8652FF52 00FFFFFF
	v_mul_lo_u32 v6, v5, s82                                   // 000000003048: D2850006 0000A505
	v_readlane_b32 s82, v3, 5                                  // 000000003050: D2890052 00010B03
	s_and_b32 s82, s82, 0xffffff                               // 000000003058: 8652FF52 00FFFFFF
	v_mul_lo_u32 v7, v4, s82                                   // 000000003060: D2850007 0000A504
	v_add_u32_e32 v40, v6, v7                                  // 000000003068: 68500F06
	v_mul_lo_u32 v40, v40, s68                                 // 00000000306C: D2850028 00008928
	v_readlane_b32 s82, v3, 6                                  // 000000003074: D2890052 00010D03
	s_and_b32 s82, s82, 0xffffff                               // 00000000307C: 8652FF52 00FFFFFF
	v_mul_lo_u32 v6, v5, s82                                   // 000000003084: D2850006 0000A505
	v_readlane_b32 s82, v3, 7                                  // 00000000308C: D2890052 00010F03
	s_and_b32 s82, s82, 0xffffff                               // 000000003094: 8652FF52 00FFFFFF
	v_mul_lo_u32 v7, v4, s82                                   // 00000000309C: D2850007 0000A504
	v_add_u32_e32 v41, v6, v7                                  // 0000000030A4: 68520F06
	v_mul_lo_u32 v41, v41, s68                                 // 0000000030A8: D2850029 00008929
	v_and_b32_e32 v4, 31, v0                                   // 0000000030B0: 2608009F
	v_lshlrev_b32_e32 v4, 2, v4                                // 0000000030B4: 24080882
	v_add_u32_e32 v38, v38, v4                                 // 0000000030B8: 684C0926
	v_add_u32_e32 v39, v39, v4                                 // 0000000030BC: 684E0927
	v_add_u32_e32 v40, v40, v4                                 // 0000000030C0: 68500928
	v_add_u32_e32 v41, v41, v4                                 // 0000000030C4: 68520929
	v_and_b32_e32 v30, 0xffffff, v30                           // 0000000030C8: 263C3CFF 00FFFFFF
	v_lshlrev_b32_e32 v30, 2, v30                              // 0000000030D0: 243C3C82
	v_and_b32_e32 v31, 0xffffff, v31                           // 0000000030D4: 263E3EFF 00FFFFFF
	v_lshlrev_b32_e32 v31, 2, v31                              // 0000000030DC: 243E3E82
	s_lshl_b32 s3, s66, 2                                      // 0000000030E0: 8E038242
	buffer_load_dword v32, v30, s[28:31], 0 offen              // 0000000030E4: E0501000 8007201E
	buffer_load_dword v33, v31, s[28:31], 0 offen              // 0000000030EC: E0501000 8007211F
	buffer_load_dword v24, v22, s[32:35], 0 offen              // 0000000030F4: E0501000 80081816
	s_mul_i32 s60, 4, s65                                      // 0000000030FC: 923C4184
	s_add_u32 s32, s60, s32                                    // 000000003100: 8020203C
	s_addc_u32 s33, 0, s33                                     // 000000003104: 82212180
	buffer_load_dword v27, v22, s[32:35], 0 offen              // 000000003108: E0501000 80081B16
	buffer_load_dword v38, s[20:23], 0 offen lds               // 000000003110: E0511000 80050026
	s_add_u32 m0, 0x100, s48                                   // 000000003118: 807C30FF 00000100
	buffer_load_dword v39, s[20:23], 0 offen lds               // 000000003120: E0511000 80050027
	s_add_u32 m0, 0x200, s48                                   // 000000003128: 807C30FF 00000200
	;; [unrolled: 2-line block ×3, first 2 shown]
	buffer_load_dword v41, s[20:23], 0 offen lds               // 000000003140: E0511000 80050029
	s_add_u32 m0, 0, s49                                       // 000000003148: 807C3180
	s_add_u32 s20, s57, s20                                    // 00000000314C: 80141439
	s_addc_u32 s21, 0, s21                                     // 000000003150: 82151580
	buffer_load_dwordx4 a[32:35], v42, s[24:27], 0 offen       // 000000003154: E05C1000 8086202A
	buffer_load_dwordx4 a[36:39], v42, s[24:27], 0 offen offset:1024// 00000000315C: E05C1400 8086242A
	buffer_load_dwordx4 a[40:43], v43, s[24:27], 0 offen       // 000000003164: E05C1000 8086282B
	buffer_load_dwordx4 a[44:47], v43, s[24:27], 0 offen offset:1024// 00000000316C: E05C1400 80862C2B
	buffer_load_dwordx4 a[48:51], v44, s[24:27], 0 offen       // 000000003174: E05C1000 8086302C
	buffer_load_dwordx4 a[52:55], v44, s[24:27], 0 offen offset:1024// 00000000317C: E05C1400 8086342C
	buffer_load_dwordx4 a[56:59], v45, s[24:27], 0 offen       // 000000003184: E05C1000 8086382D
	buffer_load_dwordx4 a[60:63], v45, s[24:27], 0 offen offset:1024// 00000000318C: E05C1400 80863C2D
	s_add_u32 s24, s58, s24                                    // 000000003194: 8018183A
	s_addc_u32 s25, 0, s25                                     // 000000003198: 82191980
	buffer_load_dword v38, s[20:23], 0 offen lds               // 00000000319C: E0511000 80050026
	s_add_u32 m0, 0x100, s49                                   // 0000000031A4: 807C31FF 00000100
	buffer_load_dword v39, s[20:23], 0 offen lds               // 0000000031AC: E0511000 80050027
	s_add_u32 m0, 0x200, s49                                   // 0000000031B4: 807C31FF 00000200
	buffer_load_dword v40, s[20:23], 0 offen lds               // 0000000031BC: E0511000 80050028
	s_add_u32 m0, 0x300, s49                                   // 0000000031C4: 807C31FF 00000300
	buffer_load_dword v41, s[20:23], 0 offen lds               // 0000000031CC: E0511000 80050029
	s_add_u32 m0, 0, s50                                       // 0000000031D4: 807C3280
	s_add_u32 s20, s57, s20                                    // 0000000031D8: 80141439
	s_addc_u32 s21, 0, s21                                     // 0000000031DC: 82151580
	buffer_load_dwordx4 a[64:67], v42, s[84:87], 0 offen       // 0000000031E0: E05C1000 8095402A
	buffer_load_dwordx4 a[68:71], v42, s[84:87], 0 offen offset:1024// 0000000031E8: E05C1400 8095442A
	buffer_load_dwordx4 a[72:75], v43, s[84:87], 0 offen       // 0000000031F0: E05C1000 8095482B
	buffer_load_dwordx4 a[76:79], v43, s[84:87], 0 offen offset:1024// 0000000031F8: E05C1400 80954C2B
	buffer_load_dwordx4 a[80:83], v44, s[84:87], 0 offen       // 000000003200: E05C1000 8095502C
	buffer_load_dwordx4 a[84:87], v44, s[84:87], 0 offen offset:1024// 000000003208: E05C1400 8095542C
	buffer_load_dwordx4 a[88:91], v45, s[84:87], 0 offen       // 000000003210: E05C1000 8095582D
	buffer_load_dwordx4 a[92:95], v45, s[84:87], 0 offen offset:1024// 000000003218: E05C1400 80955C2D
	s_add_u32 s84, s83, s84                                    // 000000003220: 80545453
	s_addc_u32 s85, 0, s85                                     // 000000003224: 82555580
	s_waitcnt vmcnt(20)                                        // 000000003228: BF8C4F74
	s_barrier                                                  // 00000000322C: BF8A0000
	ds_read_b128 a[0:3], v2                                    // 000000003230: DBFE0000 00000002
	ds_read_b128 a[4:7], v2 offset:64                          // 000000003238: DBFE0040 04000002
	ds_read_b128 a[8:11], v2 offset:512                        // 000000003240: DBFE0200 08000002
	ds_read_b128 a[12:15], v2 offset:576                       // 000000003248: DBFE0240 0C000002
	s_cmp_lt_i32 s7, 2                                         // 000000003250: BF048207
	s_cbranch_scc0 label_0EA7                                  // 000000003254: BF840C8E

0000000000003258 <label_0216>:
	s_waitcnt vmcnt(12) lgkmcnt(0)                             // 000000003258: BF8C007C
	v_mfma_f32_16x16x32_fp8_fp8 v[48:51], a[32:33], a[0:1], v[48:51]// 00000000325C: D3F30030 1CC20120
	v_mfma_f32_16x16x32_fp8_fp8 v[48:51], a[34:35], a[2:3], v[48:51]// 000000003264: D3F30030 1CC20522
	buffer_load_dwordx4 a[96:99], v42, s[24:27], 0 offen       // 00000000326C: E05C1000 8086602A
	v_mfma_f32_16x16x32_fp8_fp8 v[48:51], a[36:37], a[4:5], v[48:51]// 000000003274: D3F30030 1CC20924
	v_mfma_f32_16x16x32_fp8_fp8 v[48:51], a[38:39], a[6:7], v[48:51]// 00000000327C: D3F30030 1CC20D26
	v_mfma_f32_16x16x32_fp8_fp8 v[56:59], a[40:41], a[0:1], v[56:59]// 000000003284: D3F30038 1CE20128
	v_mfma_f32_16x16x32_fp8_fp8 v[56:59], a[42:43], a[2:3], v[56:59]// 00000000328C: D3F30038 1CE2052A
	buffer_load_dwordx4 a[100:103], v42, s[24:27], 0 offen offset:1024// 000000003294: E05C1400 8086642A
	v_mfma_f32_16x16x32_fp8_fp8 v[56:59], a[44:45], a[4:5], v[56:59]// 00000000329C: D3F30038 1CE2092C
	v_mfma_f32_16x16x32_fp8_fp8 v[56:59], a[46:47], a[6:7], v[56:59]// 0000000032A4: D3F30038 1CE20D2E
	v_mfma_f32_16x16x32_fp8_fp8 v[64:67], a[48:49], a[0:1], v[64:67]// 0000000032AC: D3F30040 1D020130
	v_mfma_f32_16x16x32_fp8_fp8 v[64:67], a[50:51], a[2:3], v[64:67]// 0000000032B4: D3F30040 1D020532
	buffer_load_dwordx4 a[104:107], v43, s[24:27], 0 offen     // 0000000032BC: E05C1000 8086682B
	v_mfma_f32_16x16x32_fp8_fp8 v[64:67], a[52:53], a[4:5], v[64:67]// 0000000032C4: D3F30040 1D020934
	v_mfma_f32_16x16x32_fp8_fp8 v[64:67], a[54:55], a[6:7], v[64:67]// 0000000032CC: D3F30040 1D020D36
	v_mfma_f32_16x16x32_fp8_fp8 v[72:75], a[56:57], a[0:1], v[72:75]// 0000000032D4: D3F30048 1D220138
	v_mfma_f32_16x16x32_fp8_fp8 v[72:75], a[58:59], a[2:3], v[72:75]// 0000000032DC: D3F30048 1D22053A
	buffer_load_dwordx4 a[108:111], v43, s[24:27], 0 offen offset:1024// 0000000032E4: E05C1400 80866C2B
	v_mfma_f32_16x16x32_fp8_fp8 v[72:75], a[60:61], a[4:5], v[72:75]// 0000000032EC: D3F30048 1D22093C
	v_mfma_f32_16x16x32_fp8_fp8 v[72:75], a[62:63], a[6:7], v[72:75]// 0000000032F4: D3F30048 1D220D3E
	v_mfma_f32_16x16x32_fp8_fp8 v[52:55], a[32:33], a[8:9], v[52:55]// 0000000032FC: D3F30034 1CD21120
	v_mfma_f32_16x16x32_fp8_fp8 v[52:55], a[34:35], a[10:11], v[52:55]// 000000003304: D3F30034 1CD21522
	buffer_load_dwordx4 a[112:115], v44, s[24:27], 0 offen     // 00000000330C: E05C1000 8086702C
	v_mfma_f32_16x16x32_fp8_fp8 v[52:55], a[36:37], a[12:13], v[52:55]// 000000003314: D3F30034 1CD21924
	v_mfma_f32_16x16x32_fp8_fp8 v[52:55], a[38:39], a[14:15], v[52:55]// 00000000331C: D3F30034 1CD21D26
	v_mfma_f32_16x16x32_fp8_fp8 v[60:63], a[40:41], a[8:9], v[60:63]// 000000003324: D3F3003C 1CF21128
	v_mfma_f32_16x16x32_fp8_fp8 v[60:63], a[42:43], a[10:11], v[60:63]// 00000000332C: D3F3003C 1CF2152A
	buffer_load_dwordx4 a[116:119], v44, s[24:27], 0 offen offset:1024// 000000003334: E05C1400 8086742C
	v_mfma_f32_16x16x32_fp8_fp8 v[60:63], a[44:45], a[12:13], v[60:63]// 00000000333C: D3F3003C 1CF2192C
	v_mfma_f32_16x16x32_fp8_fp8 v[60:63], a[46:47], a[14:15], v[60:63]// 000000003344: D3F3003C 1CF21D2E
	v_mfma_f32_16x16x32_fp8_fp8 v[68:71], a[48:49], a[8:9], v[68:71]// 00000000334C: D3F30044 1D121130
	v_mfma_f32_16x16x32_fp8_fp8 v[68:71], a[50:51], a[10:11], v[68:71]// 000000003354: D3F30044 1D121532
	buffer_load_dwordx4 a[120:123], v45, s[24:27], 0 offen     // 00000000335C: E05C1000 8086782D
	v_mfma_f32_16x16x32_fp8_fp8 v[68:71], a[52:53], a[12:13], v[68:71]// 000000003364: D3F30044 1D121934
	v_mfma_f32_16x16x32_fp8_fp8 v[68:71], a[54:55], a[14:15], v[68:71]// 00000000336C: D3F30044 1D121D36
	v_mfma_f32_16x16x32_fp8_fp8 v[76:79], a[56:57], a[8:9], v[76:79]// 000000003374: D3F3004C 1D321138
	v_mfma_f32_16x16x32_fp8_fp8 v[76:79], a[58:59], a[10:11], v[76:79]// 00000000337C: D3F3004C 1D32153A
	buffer_load_dwordx4 a[124:127], v45, s[24:27], 0 offen offset:1024// 000000003384: E05C1400 80867C2D
	buffer_load_dword v38, s[20:23], 0 offen lds               // 00000000338C: E0511000 80050026
	s_add_u32 m0, 0x100, s50                                   // 000000003394: 807C32FF 00000100
	v_mfma_f32_16x16x32_fp8_fp8 v[76:79], a[60:61], a[12:13], v[76:79]// 00000000339C: D3F3004C 1D32193C
	v_mfma_f32_16x16x32_fp8_fp8 v[76:79], a[62:63], a[14:15], v[76:79]// 0000000033A4: D3F3004C 1D321D3E
	buffer_load_dword v39, s[20:23], 0 offen lds               // 0000000033AC: E0511000 80050027
	s_add_u32 m0, 0x200, s50                                   // 0000000033B4: 807C32FF 00000200
	buffer_load_dword v40, s[20:23], 0 offen lds               // 0000000033BC: E0511000 80050028
	s_add_u32 m0, 0x300, s50                                   // 0000000033C4: 807C32FF 00000300
	buffer_load_dword v41, s[20:23], 0 offen lds               // 0000000033CC: E0511000 80050029
	s_add_u32 m0, 0, s48                                       // 0000000033D4: 807C3080
	s_waitcnt vmcnt(12)                                        // 0000000033D8: BF8C0F7C
	s_barrier                                                  // 0000000033DC: BF8A0000
	v_mfma_f32_16x16x32_fp8_fp8 v[80:83], a[64:65], a[0:1], v[80:83]// 0000000033E0: D3F30050 1D420140
	v_mfma_f32_16x16x32_fp8_fp8 v[80:83], a[66:67], a[2:3], v[80:83]// 0000000033E8: D3F30050 1D420542
	buffer_load_dwordx4 a[32:35], v42, s[84:87], 0 offen       // 0000000033F0: E05C1000 8095202A
	v_mfma_f32_16x16x32_fp8_fp8 v[80:83], a[68:69], a[4:5], v[80:83]// 0000000033F8: D3F30050 1D420944
	v_mfma_f32_16x16x32_fp8_fp8 v[80:83], a[70:71], a[6:7], v[80:83]// 000000003400: D3F30050 1D420D46
	ds_read_b128 a[16:19], v2 offset:4224                      // 000000003408: DBFE1080 10000002
	ds_read_b128 a[20:23], v2 offset:4288                      // 000000003410: DBFE10C0 14000002
	v_mfma_f32_16x16x32_fp8_fp8 v[88:91], a[72:73], a[0:1], v[88:91]// 000000003418: D3F30058 1D620148
	v_mfma_f32_16x16x32_fp8_fp8 v[88:91], a[74:75], a[2:3], v[88:91]// 000000003420: D3F30058 1D62054A
	buffer_load_dwordx4 a[36:39], v42, s[84:87], 0 offen offset:1024// 000000003428: E05C1400 8095242A
	v_mfma_f32_16x16x32_fp8_fp8 v[88:91], a[76:77], a[4:5], v[88:91]// 000000003430: D3F30058 1D62094C
	v_mfma_f32_16x16x32_fp8_fp8 v[88:91], a[78:79], a[6:7], v[88:91]// 000000003438: D3F30058 1D620D4E
	ds_read_b128 a[24:27], v2 offset:4736                      // 000000003440: DBFE1280 18000002
	ds_read_b128 a[28:31], v2 offset:4800                      // 000000003448: DBFE12C0 1C000002
	v_mfma_f32_16x16x32_fp8_fp8 v[96:99], a[80:81], a[0:1], v[96:99]// 000000003450: D3F30060 1D820150
	v_mfma_f32_16x16x32_fp8_fp8 v[96:99], a[82:83], a[2:3], v[96:99]// 000000003458: D3F30060 1D820552
	buffer_load_dwordx4 a[40:43], v43, s[84:87], 0 offen       // 000000003460: E05C1000 8095282B
	v_mfma_f32_16x16x32_fp8_fp8 v[96:99], a[84:85], a[4:5], v[96:99]// 000000003468: D3F30060 1D820954
	v_mfma_f32_16x16x32_fp8_fp8 v[96:99], a[86:87], a[6:7], v[96:99]// 000000003470: D3F30060 1D820D56
	v_mfma_f32_16x16x32_fp8_fp8 v[104:107], a[88:89], a[0:1], v[104:107]// 000000003478: D3F30068 1DA20158
	v_mfma_f32_16x16x32_fp8_fp8 v[104:107], a[90:91], a[2:3], v[104:107]// 000000003480: D3F30068 1DA2055A
	buffer_load_dwordx4 a[44:47], v43, s[84:87], 0 offen offset:1024// 000000003488: E05C1400 80952C2B
	v_mfma_f32_16x16x32_fp8_fp8 v[104:107], a[92:93], a[4:5], v[104:107]// 000000003490: D3F30068 1DA2095C
	v_mfma_f32_16x16x32_fp8_fp8 v[104:107], a[94:95], a[6:7], v[104:107]// 000000003498: D3F30068 1DA20D5E
	v_mfma_f32_16x16x32_fp8_fp8 v[84:87], a[64:65], a[8:9], v[84:87]// 0000000034A0: D3F30054 1D521140
	v_mfma_f32_16x16x32_fp8_fp8 v[84:87], a[66:67], a[10:11], v[84:87]// 0000000034A8: D3F30054 1D521542
	buffer_load_dwordx4 a[48:51], v44, s[84:87], 0 offen       // 0000000034B0: E05C1000 8095302C
	v_mfma_f32_16x16x32_fp8_fp8 v[84:87], a[68:69], a[12:13], v[84:87]// 0000000034B8: D3F30054 1D521944
	v_mfma_f32_16x16x32_fp8_fp8 v[84:87], a[70:71], a[14:15], v[84:87]// 0000000034C0: D3F30054 1D521D46
	v_mfma_f32_16x16x32_fp8_fp8 v[92:95], a[72:73], a[8:9], v[92:95]// 0000000034C8: D3F3005C 1D721148
	v_mfma_f32_16x16x32_fp8_fp8 v[92:95], a[74:75], a[10:11], v[92:95]// 0000000034D0: D3F3005C 1D72154A
	buffer_load_dwordx4 a[52:55], v44, s[84:87], 0 offen offset:1024// 0000000034D8: E05C1400 8095342C
	v_mfma_f32_16x16x32_fp8_fp8 v[92:95], a[76:77], a[12:13], v[92:95]// 0000000034E0: D3F3005C 1D72194C
	v_mfma_f32_16x16x32_fp8_fp8 v[92:95], a[78:79], a[14:15], v[92:95]// 0000000034E8: D3F3005C 1D721D4E
	v_mfma_f32_16x16x32_fp8_fp8 v[100:103], a[80:81], a[8:9], v[100:103]// 0000000034F0: D3F30064 1D921150
	s_add_u32 s60, 0x180, s80                                  // 0000000034F8: 803C50FF 00000180
	s_cmp_lt_u32 s60, s81                                      // 000000003500: BF0A513C
	s_cselect_b32 s57, s57, 0                                  // 000000003504: 85398039
	v_mfma_f32_16x16x32_fp8_fp8 v[100:103], a[82:83], a[10:11], v[100:103]// 000000003508: D3F30064 1D921552
	buffer_load_dwordx4 a[56:59], v45, s[84:87], 0 offen       // 000000003510: E05C1000 8095382D
	s_add_u32 s60, 0x100, s80                                  // 000000003518: 803C50FF 00000100
	s_cmp_lt_u32 s60, s81                                      // 000000003520: BF0A513C
	s_cselect_b32 s58, s58, 0                                  // 000000003524: 853A803A
	v_mfma_f32_16x16x32_fp8_fp8 v[100:103], a[84:85], a[12:13], v[100:103]// 000000003528: D3F30064 1D921954
	s_add_u32 s60, 0x100, s80                                  // 000000003530: 803C50FF 00000100
	s_cmp_lt_u32 s60, s81                                      // 000000003538: BF0A513C
	s_cselect_b32 s83, s83, 0                                  // 00000000353C: 85538053
	v_mfma_f32_16x16x32_fp8_fp8 v[100:103], a[86:87], a[14:15], v[100:103]// 000000003540: D3F30064 1D921D56
	s_add_u32 s24, s58, s24                                    // 000000003548: 8018183A
	s_addc_u32 s25, 0, s25                                     // 00000000354C: 82191980
	v_mfma_f32_16x16x32_fp8_fp8 v[108:111], a[88:89], a[8:9], v[108:111]// 000000003550: D3F3006C 1DB21158
	s_add_u32 s20, s57, s20                                    // 000000003558: 80141439
	s_addc_u32 s21, 0, s21                                     // 00000000355C: 82151580
	v_mfma_f32_16x16x32_fp8_fp8 v[108:111], a[90:91], a[10:11], v[108:111]// 000000003560: D3F3006C 1DB2155A
	buffer_load_dwordx4 a[60:63], v45, s[84:87], 0 offen offset:1024// 000000003568: E05C1400 80953C2D
	s_add_u32 s84, s83, s84                                    // 000000003570: 80545453
	s_addc_u32 s85, 0, s85                                     // 000000003574: 82555580
	v_mfma_f32_16x16x32_fp8_fp8 v[108:111], a[92:93], a[12:13], v[108:111]// 000000003578: D3F3006C 1DB2195C
	v_mfma_f32_16x16x32_fp8_fp8 v[108:111], a[94:95], a[14:15], v[108:111]// 000000003580: D3F3006C 1DB21D5E
	s_addk_i32 s80, 0x80                                       // 000000003588: B7500080
	s_cmp_lt_i32 s80, s81                                      // 00000000358C: BF045150
	s_cbranch_scc0 label_06F1                                  // 000000003590: BF84040C
	s_waitcnt vmcnt(12) lgkmcnt(0)                             // 000000003594: BF8C007C
	v_mfma_f32_16x16x32_fp8_fp8 v[48:51], a[96:97], a[16:17], v[48:51]// 000000003598: D3F30030 1CC22160
	v_mfma_f32_16x16x32_fp8_fp8 v[48:51], a[98:99], a[18:19], v[48:51]// 0000000035A0: D3F30030 1CC22562
	buffer_load_dwordx4 a[64:67], v42, s[24:27], 0 offen       // 0000000035A8: E05C1000 8086402A
	v_mfma_f32_16x16x32_fp8_fp8 v[48:51], a[100:101], a[20:21], v[48:51]// 0000000035B0: D3F30030 1CC22964
	v_mfma_f32_16x16x32_fp8_fp8 v[48:51], a[102:103], a[22:23], v[48:51]// 0000000035B8: D3F30030 1CC22D66
	v_mfma_f32_16x16x32_fp8_fp8 v[56:59], a[104:105], a[16:17], v[56:59]// 0000000035C0: D3F30038 1CE22168
	v_mfma_f32_16x16x32_fp8_fp8 v[56:59], a[106:107], a[18:19], v[56:59]// 0000000035C8: D3F30038 1CE2256A
	buffer_load_dwordx4 a[68:71], v42, s[24:27], 0 offen offset:1024// 0000000035D0: E05C1400 8086442A
	v_mfma_f32_16x16x32_fp8_fp8 v[56:59], a[108:109], a[20:21], v[56:59]// 0000000035D8: D3F30038 1CE2296C
	v_mfma_f32_16x16x32_fp8_fp8 v[56:59], a[110:111], a[22:23], v[56:59]// 0000000035E0: D3F30038 1CE22D6E
	v_mfma_f32_16x16x32_fp8_fp8 v[64:67], a[112:113], a[16:17], v[64:67]// 0000000035E8: D3F30040 1D022170
	v_mfma_f32_16x16x32_fp8_fp8 v[64:67], a[114:115], a[18:19], v[64:67]// 0000000035F0: D3F30040 1D022572
	buffer_load_dwordx4 a[72:75], v43, s[24:27], 0 offen       // 0000000035F8: E05C1000 8086482B
	v_mfma_f32_16x16x32_fp8_fp8 v[64:67], a[116:117], a[20:21], v[64:67]// 000000003600: D3F30040 1D022974
	v_mfma_f32_16x16x32_fp8_fp8 v[64:67], a[118:119], a[22:23], v[64:67]// 000000003608: D3F30040 1D022D76
	v_mfma_f32_16x16x32_fp8_fp8 v[72:75], a[120:121], a[16:17], v[72:75]// 000000003610: D3F30048 1D222178
	v_mfma_f32_16x16x32_fp8_fp8 v[72:75], a[122:123], a[18:19], v[72:75]// 000000003618: D3F30048 1D22257A
	buffer_load_dwordx4 a[76:79], v43, s[24:27], 0 offen offset:1024// 000000003620: E05C1400 80864C2B
	v_mfma_f32_16x16x32_fp8_fp8 v[72:75], a[124:125], a[20:21], v[72:75]// 000000003628: D3F30048 1D22297C
	v_mfma_f32_16x16x32_fp8_fp8 v[72:75], a[126:127], a[22:23], v[72:75]// 000000003630: D3F30048 1D222D7E
	v_mfma_f32_16x16x32_fp8_fp8 v[52:55], a[96:97], a[24:25], v[52:55]// 000000003638: D3F30034 1CD23160
	v_mfma_f32_16x16x32_fp8_fp8 v[52:55], a[98:99], a[26:27], v[52:55]// 000000003640: D3F30034 1CD23562
	buffer_load_dwordx4 a[80:83], v44, s[24:27], 0 offen       // 000000003648: E05C1000 8086502C
	v_mfma_f32_16x16x32_fp8_fp8 v[52:55], a[100:101], a[28:29], v[52:55]// 000000003650: D3F30034 1CD23964
	v_mfma_f32_16x16x32_fp8_fp8 v[52:55], a[102:103], a[30:31], v[52:55]// 000000003658: D3F30034 1CD23D66
	v_mfma_f32_16x16x32_fp8_fp8 v[60:63], a[104:105], a[24:25], v[60:63]// 000000003660: D3F3003C 1CF23168
	v_mfma_f32_16x16x32_fp8_fp8 v[60:63], a[106:107], a[26:27], v[60:63]// 000000003668: D3F3003C 1CF2356A
	buffer_load_dwordx4 a[84:87], v44, s[24:27], 0 offen offset:1024// 000000003670: E05C1400 8086542C
	v_mfma_f32_16x16x32_fp8_fp8 v[60:63], a[108:109], a[28:29], v[60:63]// 000000003678: D3F3003C 1CF2396C
	v_mfma_f32_16x16x32_fp8_fp8 v[60:63], a[110:111], a[30:31], v[60:63]// 000000003680: D3F3003C 1CF23D6E
	v_mfma_f32_16x16x32_fp8_fp8 v[68:71], a[112:113], a[24:25], v[68:71]// 000000003688: D3F30044 1D123170
	v_mfma_f32_16x16x32_fp8_fp8 v[68:71], a[114:115], a[26:27], v[68:71]// 000000003690: D3F30044 1D123572
	buffer_load_dwordx4 a[88:91], v45, s[24:27], 0 offen       // 000000003698: E05C1000 8086582D
	v_mfma_f32_16x16x32_fp8_fp8 v[68:71], a[116:117], a[28:29], v[68:71]// 0000000036A0: D3F30044 1D123974
	v_mfma_f32_16x16x32_fp8_fp8 v[68:71], a[118:119], a[30:31], v[68:71]// 0000000036A8: D3F30044 1D123D76
	v_mfma_f32_16x16x32_fp8_fp8 v[76:79], a[120:121], a[24:25], v[76:79]// 0000000036B0: D3F3004C 1D323178
	v_mfma_f32_16x16x32_fp8_fp8 v[76:79], a[122:123], a[26:27], v[76:79]// 0000000036B8: D3F3004C 1D32357A
	buffer_load_dwordx4 a[92:95], v45, s[24:27], 0 offen offset:1024// 0000000036C0: E05C1400 80865C2D
	buffer_load_dword v38, s[20:23], 0 offen lds               // 0000000036C8: E0511000 80050026
	s_add_u32 m0, 0x100, s48                                   // 0000000036D0: 807C30FF 00000100
	v_mfma_f32_16x16x32_fp8_fp8 v[76:79], a[124:125], a[28:29], v[76:79]// 0000000036D8: D3F3004C 1D32397C
	v_mfma_f32_16x16x32_fp8_fp8 v[76:79], a[126:127], a[30:31], v[76:79]// 0000000036E0: D3F3004C 1D323D7E
	buffer_load_dword v39, s[20:23], 0 offen lds               // 0000000036E8: E0511000 80050027
	s_add_u32 m0, 0x200, s48                                   // 0000000036F0: 807C30FF 00000200
	buffer_load_dword v40, s[20:23], 0 offen lds               // 0000000036F8: E0511000 80050028
	s_add_u32 m0, 0x300, s48                                   // 000000003700: 807C30FF 00000300
	buffer_load_dword v41, s[20:23], 0 offen lds               // 000000003708: E0511000 80050029
	s_add_u32 m0, 0, s49                                       // 000000003710: 807C3180
	s_waitcnt vmcnt(12)                                        // 000000003714: BF8C0F7C
	s_barrier                                                  // 000000003718: BF8A0000
	v_mfma_f32_16x16x32_fp8_fp8 v[80:83], a[32:33], a[16:17], v[80:83]// 00000000371C: D3F30050 1D422120
	v_mfma_f32_16x16x32_fp8_fp8 v[80:83], a[34:35], a[18:19], v[80:83]// 000000003724: D3F30050 1D422522
	buffer_load_dwordx4 a[96:99], v42, s[84:87], 0 offen       // 00000000372C: E05C1000 8095602A
	v_mfma_f32_16x16x32_fp8_fp8 v[80:83], a[36:37], a[20:21], v[80:83]// 000000003734: D3F30050 1D422924
	v_mfma_f32_16x16x32_fp8_fp8 v[80:83], a[38:39], a[22:23], v[80:83]// 00000000373C: D3F30050 1D422D26
	ds_read_b128 a[0:3], v2 offset:8448                        // 000000003744: DBFE2100 00000002
	ds_read_b128 a[4:7], v2 offset:8512                        // 00000000374C: DBFE2140 04000002
	v_mfma_f32_16x16x32_fp8_fp8 v[88:91], a[40:41], a[16:17], v[88:91]// 000000003754: D3F30058 1D622128
	v_mfma_f32_16x16x32_fp8_fp8 v[88:91], a[42:43], a[18:19], v[88:91]// 00000000375C: D3F30058 1D62252A
	buffer_load_dwordx4 a[100:103], v42, s[84:87], 0 offen offset:1024// 000000003764: E05C1400 8095642A
	v_mfma_f32_16x16x32_fp8_fp8 v[88:91], a[44:45], a[20:21], v[88:91]// 00000000376C: D3F30058 1D62292C
	v_mfma_f32_16x16x32_fp8_fp8 v[88:91], a[46:47], a[22:23], v[88:91]// 000000003774: D3F30058 1D622D2E
	ds_read_b128 a[8:11], v2 offset:8960                       // 00000000377C: DBFE2300 08000002
	ds_read_b128 a[12:15], v2 offset:9024                      // 000000003784: DBFE2340 0C000002
	v_mfma_f32_16x16x32_fp8_fp8 v[96:99], a[48:49], a[16:17], v[96:99]// 00000000378C: D3F30060 1D822130
	v_mfma_f32_16x16x32_fp8_fp8 v[96:99], a[50:51], a[18:19], v[96:99]// 000000003794: D3F30060 1D822532
	buffer_load_dwordx4 a[104:107], v43, s[84:87], 0 offen     // 00000000379C: E05C1000 8095682B
	v_mfma_f32_16x16x32_fp8_fp8 v[96:99], a[52:53], a[20:21], v[96:99]// 0000000037A4: D3F30060 1D822934
	v_mfma_f32_16x16x32_fp8_fp8 v[96:99], a[54:55], a[22:23], v[96:99]// 0000000037AC: D3F30060 1D822D36
	v_mfma_f32_16x16x32_fp8_fp8 v[104:107], a[56:57], a[16:17], v[104:107]// 0000000037B4: D3F30068 1DA22138
	v_mfma_f32_16x16x32_fp8_fp8 v[104:107], a[58:59], a[18:19], v[104:107]// 0000000037BC: D3F30068 1DA2253A
	buffer_load_dwordx4 a[108:111], v43, s[84:87], 0 offen offset:1024// 0000000037C4: E05C1400 80956C2B
	v_mfma_f32_16x16x32_fp8_fp8 v[104:107], a[60:61], a[20:21], v[104:107]// 0000000037CC: D3F30068 1DA2293C
	v_mfma_f32_16x16x32_fp8_fp8 v[104:107], a[62:63], a[22:23], v[104:107]// 0000000037D4: D3F30068 1DA22D3E
	v_mfma_f32_16x16x32_fp8_fp8 v[84:87], a[32:33], a[24:25], v[84:87]// 0000000037DC: D3F30054 1D523120
	v_mfma_f32_16x16x32_fp8_fp8 v[84:87], a[34:35], a[26:27], v[84:87]// 0000000037E4: D3F30054 1D523522
	buffer_load_dwordx4 a[112:115], v44, s[84:87], 0 offen     // 0000000037EC: E05C1000 8095702C
	v_mfma_f32_16x16x32_fp8_fp8 v[84:87], a[36:37], a[28:29], v[84:87]// 0000000037F4: D3F30054 1D523924
	v_mfma_f32_16x16x32_fp8_fp8 v[84:87], a[38:39], a[30:31], v[84:87]// 0000000037FC: D3F30054 1D523D26
	v_mfma_f32_16x16x32_fp8_fp8 v[92:95], a[40:41], a[24:25], v[92:95]// 000000003804: D3F3005C 1D723128
	v_mfma_f32_16x16x32_fp8_fp8 v[92:95], a[42:43], a[26:27], v[92:95]// 00000000380C: D3F3005C 1D72352A
	buffer_load_dwordx4 a[116:119], v44, s[84:87], 0 offen offset:1024// 000000003814: E05C1400 8095742C
	v_mfma_f32_16x16x32_fp8_fp8 v[92:95], a[44:45], a[28:29], v[92:95]// 00000000381C: D3F3005C 1D72392C
	v_mfma_f32_16x16x32_fp8_fp8 v[92:95], a[46:47], a[30:31], v[92:95]// 000000003824: D3F3005C 1D723D2E
	v_mfma_f32_16x16x32_fp8_fp8 v[100:103], a[48:49], a[24:25], v[100:103]// 00000000382C: D3F30064 1D923130
	s_add_u32 s60, 0x180, s80                                  // 000000003834: 803C50FF 00000180
	s_cmp_lt_u32 s60, s81                                      // 00000000383C: BF0A513C
	s_cselect_b32 s57, s57, 0                                  // 000000003840: 85398039
	v_mfma_f32_16x16x32_fp8_fp8 v[100:103], a[50:51], a[26:27], v[100:103]// 000000003844: D3F30064 1D923532
	buffer_load_dwordx4 a[120:123], v45, s[84:87], 0 offen     // 00000000384C: E05C1000 8095782D
	s_add_u32 s60, 0x100, s80                                  // 000000003854: 803C50FF 00000100
	s_cmp_lt_u32 s60, s81                                      // 00000000385C: BF0A513C
	s_cselect_b32 s58, s58, 0                                  // 000000003860: 853A803A
	v_mfma_f32_16x16x32_fp8_fp8 v[100:103], a[52:53], a[28:29], v[100:103]// 000000003864: D3F30064 1D923934
	s_add_u32 s60, 0x100, s80                                  // 00000000386C: 803C50FF 00000100
	s_cmp_lt_u32 s60, s81                                      // 000000003874: BF0A513C
	s_cselect_b32 s83, s83, 0                                  // 000000003878: 85538053
	v_mfma_f32_16x16x32_fp8_fp8 v[100:103], a[54:55], a[30:31], v[100:103]// 00000000387C: D3F30064 1D923D36
	s_add_u32 s24, s58, s24                                    // 000000003884: 8018183A
	s_addc_u32 s25, 0, s25                                     // 000000003888: 82191980
	v_mfma_f32_16x16x32_fp8_fp8 v[108:111], a[56:57], a[24:25], v[108:111]// 00000000388C: D3F3006C 1DB23138
	s_add_u32 s20, s57, s20                                    // 000000003894: 80141439
	s_addc_u32 s21, 0, s21                                     // 000000003898: 82151580
	v_mfma_f32_16x16x32_fp8_fp8 v[108:111], a[58:59], a[26:27], v[108:111]// 00000000389C: D3F3006C 1DB2353A
	buffer_load_dwordx4 a[124:127], v45, s[84:87], 0 offen offset:1024// 0000000038A4: E05C1400 80957C2D
	s_add_u32 s84, s83, s84                                    // 0000000038AC: 80545453
	s_addc_u32 s85, 0, s85                                     // 0000000038B0: 82555580
	v_mfma_f32_16x16x32_fp8_fp8 v[108:111], a[60:61], a[28:29], v[108:111]// 0000000038B4: D3F3006C 1DB2393C
	v_mfma_f32_16x16x32_fp8_fp8 v[108:111], a[62:63], a[30:31], v[108:111]// 0000000038BC: D3F3006C 1DB23D3E
	s_addk_i32 s80, 0x80                                       // 0000000038C4: B7500080
	s_cmp_lt_i32 s80, s81                                      // 0000000038C8: BF045150
	s_cbranch_scc0 label_06F1                                  // 0000000038CC: BF84033D
	s_waitcnt vmcnt(12) lgkmcnt(0)                             // 0000000038D0: BF8C007C
	v_mfma_f32_16x16x32_fp8_fp8 v[48:51], a[64:65], a[0:1], v[48:51]// 0000000038D4: D3F30030 1CC20140
	v_mfma_f32_16x16x32_fp8_fp8 v[48:51], a[66:67], a[2:3], v[48:51]// 0000000038DC: D3F30030 1CC20542
	buffer_load_dwordx4 a[32:35], v42, s[24:27], 0 offen       // 0000000038E4: E05C1000 8086202A
	v_mfma_f32_16x16x32_fp8_fp8 v[48:51], a[68:69], a[4:5], v[48:51]// 0000000038EC: D3F30030 1CC20944
	v_mfma_f32_16x16x32_fp8_fp8 v[48:51], a[70:71], a[6:7], v[48:51]// 0000000038F4: D3F30030 1CC20D46
	v_mfma_f32_16x16x32_fp8_fp8 v[56:59], a[72:73], a[0:1], v[56:59]// 0000000038FC: D3F30038 1CE20148
	v_mfma_f32_16x16x32_fp8_fp8 v[56:59], a[74:75], a[2:3], v[56:59]// 000000003904: D3F30038 1CE2054A
	buffer_load_dwordx4 a[36:39], v42, s[24:27], 0 offen offset:1024// 00000000390C: E05C1400 8086242A
	v_mfma_f32_16x16x32_fp8_fp8 v[56:59], a[76:77], a[4:5], v[56:59]// 000000003914: D3F30038 1CE2094C
	v_mfma_f32_16x16x32_fp8_fp8 v[56:59], a[78:79], a[6:7], v[56:59]// 00000000391C: D3F30038 1CE20D4E
	v_mfma_f32_16x16x32_fp8_fp8 v[64:67], a[80:81], a[0:1], v[64:67]// 000000003924: D3F30040 1D020150
	v_mfma_f32_16x16x32_fp8_fp8 v[64:67], a[82:83], a[2:3], v[64:67]// 00000000392C: D3F30040 1D020552
	buffer_load_dwordx4 a[40:43], v43, s[24:27], 0 offen       // 000000003934: E05C1000 8086282B
	v_mfma_f32_16x16x32_fp8_fp8 v[64:67], a[84:85], a[4:5], v[64:67]// 00000000393C: D3F30040 1D020954
	v_mfma_f32_16x16x32_fp8_fp8 v[64:67], a[86:87], a[6:7], v[64:67]// 000000003944: D3F30040 1D020D56
	v_mfma_f32_16x16x32_fp8_fp8 v[72:75], a[88:89], a[0:1], v[72:75]// 00000000394C: D3F30048 1D220158
	v_mfma_f32_16x16x32_fp8_fp8 v[72:75], a[90:91], a[2:3], v[72:75]// 000000003954: D3F30048 1D22055A
	buffer_load_dwordx4 a[44:47], v43, s[24:27], 0 offen offset:1024// 00000000395C: E05C1400 80862C2B
	v_mfma_f32_16x16x32_fp8_fp8 v[72:75], a[92:93], a[4:5], v[72:75]// 000000003964: D3F30048 1D22095C
	v_mfma_f32_16x16x32_fp8_fp8 v[72:75], a[94:95], a[6:7], v[72:75]// 00000000396C: D3F30048 1D220D5E
	v_mfma_f32_16x16x32_fp8_fp8 v[52:55], a[64:65], a[8:9], v[52:55]// 000000003974: D3F30034 1CD21140
	v_mfma_f32_16x16x32_fp8_fp8 v[52:55], a[66:67], a[10:11], v[52:55]// 00000000397C: D3F30034 1CD21542
	buffer_load_dwordx4 a[48:51], v44, s[24:27], 0 offen       // 000000003984: E05C1000 8086302C
	v_mfma_f32_16x16x32_fp8_fp8 v[52:55], a[68:69], a[12:13], v[52:55]// 00000000398C: D3F30034 1CD21944
	v_mfma_f32_16x16x32_fp8_fp8 v[52:55], a[70:71], a[14:15], v[52:55]// 000000003994: D3F30034 1CD21D46
	v_mfma_f32_16x16x32_fp8_fp8 v[60:63], a[72:73], a[8:9], v[60:63]// 00000000399C: D3F3003C 1CF21148
	v_mfma_f32_16x16x32_fp8_fp8 v[60:63], a[74:75], a[10:11], v[60:63]// 0000000039A4: D3F3003C 1CF2154A
	buffer_load_dwordx4 a[52:55], v44, s[24:27], 0 offen offset:1024// 0000000039AC: E05C1400 8086342C
	v_mfma_f32_16x16x32_fp8_fp8 v[60:63], a[76:77], a[12:13], v[60:63]// 0000000039B4: D3F3003C 1CF2194C
	v_mfma_f32_16x16x32_fp8_fp8 v[60:63], a[78:79], a[14:15], v[60:63]// 0000000039BC: D3F3003C 1CF21D4E
	v_mfma_f32_16x16x32_fp8_fp8 v[68:71], a[80:81], a[8:9], v[68:71]// 0000000039C4: D3F30044 1D121150
	v_mfma_f32_16x16x32_fp8_fp8 v[68:71], a[82:83], a[10:11], v[68:71]// 0000000039CC: D3F30044 1D121552
	buffer_load_dwordx4 a[56:59], v45, s[24:27], 0 offen       // 0000000039D4: E05C1000 8086382D
	v_mfma_f32_16x16x32_fp8_fp8 v[68:71], a[84:85], a[12:13], v[68:71]// 0000000039DC: D3F30044 1D121954
	v_mfma_f32_16x16x32_fp8_fp8 v[68:71], a[86:87], a[14:15], v[68:71]// 0000000039E4: D3F30044 1D121D56
	v_mfma_f32_16x16x32_fp8_fp8 v[76:79], a[88:89], a[8:9], v[76:79]// 0000000039EC: D3F3004C 1D321158
	v_mfma_f32_16x16x32_fp8_fp8 v[76:79], a[90:91], a[10:11], v[76:79]// 0000000039F4: D3F3004C 1D32155A
	buffer_load_dwordx4 a[60:63], v45, s[24:27], 0 offen offset:1024// 0000000039FC: E05C1400 80863C2D
	buffer_load_dword v38, s[20:23], 0 offen lds               // 000000003A04: E0511000 80050026
	s_add_u32 m0, 0x100, s49                                   // 000000003A0C: 807C31FF 00000100
	v_mfma_f32_16x16x32_fp8_fp8 v[76:79], a[92:93], a[12:13], v[76:79]// 000000003A14: D3F3004C 1D32195C
	v_mfma_f32_16x16x32_fp8_fp8 v[76:79], a[94:95], a[14:15], v[76:79]// 000000003A1C: D3F3004C 1D321D5E
	buffer_load_dword v39, s[20:23], 0 offen lds               // 000000003A24: E0511000 80050027
	s_add_u32 m0, 0x200, s49                                   // 000000003A2C: 807C31FF 00000200
	buffer_load_dword v40, s[20:23], 0 offen lds               // 000000003A34: E0511000 80050028
	s_add_u32 m0, 0x300, s49                                   // 000000003A3C: 807C31FF 00000300
	buffer_load_dword v41, s[20:23], 0 offen lds               // 000000003A44: E0511000 80050029
	s_add_u32 m0, 0, s50                                       // 000000003A4C: 807C3280
	s_waitcnt vmcnt(12)                                        // 000000003A50: BF8C0F7C
	s_barrier                                                  // 000000003A54: BF8A0000
	v_mfma_f32_16x16x32_fp8_fp8 v[80:83], a[96:97], a[0:1], v[80:83]// 000000003A58: D3F30050 1D420160
	v_mfma_f32_16x16x32_fp8_fp8 v[80:83], a[98:99], a[2:3], v[80:83]// 000000003A60: D3F30050 1D420562
	buffer_load_dwordx4 a[64:67], v42, s[84:87], 0 offen       // 000000003A68: E05C1000 8095402A
	v_mfma_f32_16x16x32_fp8_fp8 v[80:83], a[100:101], a[4:5], v[80:83]// 000000003A70: D3F30050 1D420964
	v_mfma_f32_16x16x32_fp8_fp8 v[80:83], a[102:103], a[6:7], v[80:83]// 000000003A78: D3F30050 1D420D66
	ds_read_b128 a[16:19], v2                                  // 000000003A80: DBFE0000 10000002
	ds_read_b128 a[20:23], v2 offset:64                        // 000000003A88: DBFE0040 14000002
	v_mfma_f32_16x16x32_fp8_fp8 v[88:91], a[104:105], a[0:1], v[88:91]// 000000003A90: D3F30058 1D620168
	v_mfma_f32_16x16x32_fp8_fp8 v[88:91], a[106:107], a[2:3], v[88:91]// 000000003A98: D3F30058 1D62056A
	buffer_load_dwordx4 a[68:71], v42, s[84:87], 0 offen offset:1024// 000000003AA0: E05C1400 8095442A
	v_mfma_f32_16x16x32_fp8_fp8 v[88:91], a[108:109], a[4:5], v[88:91]// 000000003AA8: D3F30058 1D62096C
	v_mfma_f32_16x16x32_fp8_fp8 v[88:91], a[110:111], a[6:7], v[88:91]// 000000003AB0: D3F30058 1D620D6E
	ds_read_b128 a[24:27], v2 offset:512                       // 000000003AB8: DBFE0200 18000002
	ds_read_b128 a[28:31], v2 offset:576                       // 000000003AC0: DBFE0240 1C000002
	v_mfma_f32_16x16x32_fp8_fp8 v[96:99], a[112:113], a[0:1], v[96:99]// 000000003AC8: D3F30060 1D820170
	v_mfma_f32_16x16x32_fp8_fp8 v[96:99], a[114:115], a[2:3], v[96:99]// 000000003AD0: D3F30060 1D820572
	buffer_load_dwordx4 a[72:75], v43, s[84:87], 0 offen       // 000000003AD8: E05C1000 8095482B
	v_mfma_f32_16x16x32_fp8_fp8 v[96:99], a[116:117], a[4:5], v[96:99]// 000000003AE0: D3F30060 1D820974
	v_mfma_f32_16x16x32_fp8_fp8 v[96:99], a[118:119], a[6:7], v[96:99]// 000000003AE8: D3F30060 1D820D76
	v_mfma_f32_16x16x32_fp8_fp8 v[104:107], a[120:121], a[0:1], v[104:107]// 000000003AF0: D3F30068 1DA20178
	v_mfma_f32_16x16x32_fp8_fp8 v[104:107], a[122:123], a[2:3], v[104:107]// 000000003AF8: D3F30068 1DA2057A
	buffer_load_dwordx4 a[76:79], v43, s[84:87], 0 offen offset:1024// 000000003B00: E05C1400 80954C2B
	v_mfma_f32_16x16x32_fp8_fp8 v[104:107], a[124:125], a[4:5], v[104:107]// 000000003B08: D3F30068 1DA2097C
	v_mfma_f32_16x16x32_fp8_fp8 v[104:107], a[126:127], a[6:7], v[104:107]// 000000003B10: D3F30068 1DA20D7E
	v_mfma_f32_16x16x32_fp8_fp8 v[84:87], a[96:97], a[8:9], v[84:87]// 000000003B18: D3F30054 1D521160
	v_mfma_f32_16x16x32_fp8_fp8 v[84:87], a[98:99], a[10:11], v[84:87]// 000000003B20: D3F30054 1D521562
	buffer_load_dwordx4 a[80:83], v44, s[84:87], 0 offen       // 000000003B28: E05C1000 8095502C
	v_mfma_f32_16x16x32_fp8_fp8 v[84:87], a[100:101], a[12:13], v[84:87]// 000000003B30: D3F30054 1D521964
	v_mfma_f32_16x16x32_fp8_fp8 v[84:87], a[102:103], a[14:15], v[84:87]// 000000003B38: D3F30054 1D521D66
	v_mfma_f32_16x16x32_fp8_fp8 v[92:95], a[104:105], a[8:9], v[92:95]// 000000003B40: D3F3005C 1D721168
	v_mfma_f32_16x16x32_fp8_fp8 v[92:95], a[106:107], a[10:11], v[92:95]// 000000003B48: D3F3005C 1D72156A
	buffer_load_dwordx4 a[84:87], v44, s[84:87], 0 offen offset:1024// 000000003B50: E05C1400 8095542C
	v_mfma_f32_16x16x32_fp8_fp8 v[92:95], a[108:109], a[12:13], v[92:95]// 000000003B58: D3F3005C 1D72196C
	v_mfma_f32_16x16x32_fp8_fp8 v[92:95], a[110:111], a[14:15], v[92:95]// 000000003B60: D3F3005C 1D721D6E
	v_mfma_f32_16x16x32_fp8_fp8 v[100:103], a[112:113], a[8:9], v[100:103]// 000000003B68: D3F30064 1D921170
	s_add_u32 s60, 0x180, s80                                  // 000000003B70: 803C50FF 00000180
	s_cmp_lt_u32 s60, s81                                      // 000000003B78: BF0A513C
	s_cselect_b32 s57, s57, 0                                  // 000000003B7C: 85398039
	v_mfma_f32_16x16x32_fp8_fp8 v[100:103], a[114:115], a[10:11], v[100:103]// 000000003B80: D3F30064 1D921572
	buffer_load_dwordx4 a[88:91], v45, s[84:87], 0 offen       // 000000003B88: E05C1000 8095582D
	s_add_u32 s60, 0x100, s80                                  // 000000003B90: 803C50FF 00000100
	s_cmp_lt_u32 s60, s81                                      // 000000003B98: BF0A513C
	s_cselect_b32 s58, s58, 0                                  // 000000003B9C: 853A803A
	v_mfma_f32_16x16x32_fp8_fp8 v[100:103], a[116:117], a[12:13], v[100:103]// 000000003BA0: D3F30064 1D921974
	s_add_u32 s60, 0x100, s80                                  // 000000003BA8: 803C50FF 00000100
	s_cmp_lt_u32 s60, s81                                      // 000000003BB0: BF0A513C
	s_cselect_b32 s83, s83, 0                                  // 000000003BB4: 85538053
	v_mfma_f32_16x16x32_fp8_fp8 v[100:103], a[118:119], a[14:15], v[100:103]// 000000003BB8: D3F30064 1D921D76
	s_add_u32 s24, s58, s24                                    // 000000003BC0: 8018183A
	s_addc_u32 s25, 0, s25                                     // 000000003BC4: 82191980
	v_mfma_f32_16x16x32_fp8_fp8 v[108:111], a[120:121], a[8:9], v[108:111]// 000000003BC8: D3F3006C 1DB21178
	s_add_u32 s20, s57, s20                                    // 000000003BD0: 80141439
	s_addc_u32 s21, 0, s21                                     // 000000003BD4: 82151580
	v_mfma_f32_16x16x32_fp8_fp8 v[108:111], a[122:123], a[10:11], v[108:111]// 000000003BD8: D3F3006C 1DB2157A
	buffer_load_dwordx4 a[92:95], v45, s[84:87], 0 offen offset:1024// 000000003BE0: E05C1400 80955C2D
	s_add_u32 s84, s83, s84                                    // 000000003BE8: 80545453
	s_addc_u32 s85, 0, s85                                     // 000000003BEC: 82555580
	v_mfma_f32_16x16x32_fp8_fp8 v[108:111], a[124:125], a[12:13], v[108:111]// 000000003BF0: D3F3006C 1DB2197C
	v_mfma_f32_16x16x32_fp8_fp8 v[108:111], a[126:127], a[14:15], v[108:111]// 000000003BF8: D3F3006C 1DB21D7E
	s_addk_i32 s80, 0x80                                       // 000000003C00: B7500080
	s_cmp_lt_i32 s80, s81                                      // 000000003C04: BF045150
	s_cbranch_scc0 label_06F1                                  // 000000003C08: BF84026E
	s_waitcnt vmcnt(12) lgkmcnt(0)                             // 000000003C0C: BF8C007C
	v_mfma_f32_16x16x32_fp8_fp8 v[48:51], a[32:33], a[16:17], v[48:51]// 000000003C10: D3F30030 1CC22120
	v_mfma_f32_16x16x32_fp8_fp8 v[48:51], a[34:35], a[18:19], v[48:51]// 000000003C18: D3F30030 1CC22522
	buffer_load_dwordx4 a[96:99], v42, s[24:27], 0 offen       // 000000003C20: E05C1000 8086602A
	v_mfma_f32_16x16x32_fp8_fp8 v[48:51], a[36:37], a[20:21], v[48:51]// 000000003C28: D3F30030 1CC22924
	v_mfma_f32_16x16x32_fp8_fp8 v[48:51], a[38:39], a[22:23], v[48:51]// 000000003C30: D3F30030 1CC22D26
	v_mfma_f32_16x16x32_fp8_fp8 v[56:59], a[40:41], a[16:17], v[56:59]// 000000003C38: D3F30038 1CE22128
	v_mfma_f32_16x16x32_fp8_fp8 v[56:59], a[42:43], a[18:19], v[56:59]// 000000003C40: D3F30038 1CE2252A
	buffer_load_dwordx4 a[100:103], v42, s[24:27], 0 offen offset:1024// 000000003C48: E05C1400 8086642A
	v_mfma_f32_16x16x32_fp8_fp8 v[56:59], a[44:45], a[20:21], v[56:59]// 000000003C50: D3F30038 1CE2292C
	v_mfma_f32_16x16x32_fp8_fp8 v[56:59], a[46:47], a[22:23], v[56:59]// 000000003C58: D3F30038 1CE22D2E
	v_mfma_f32_16x16x32_fp8_fp8 v[64:67], a[48:49], a[16:17], v[64:67]// 000000003C60: D3F30040 1D022130
	v_mfma_f32_16x16x32_fp8_fp8 v[64:67], a[50:51], a[18:19], v[64:67]// 000000003C68: D3F30040 1D022532
	buffer_load_dwordx4 a[104:107], v43, s[24:27], 0 offen     // 000000003C70: E05C1000 8086682B
	v_mfma_f32_16x16x32_fp8_fp8 v[64:67], a[52:53], a[20:21], v[64:67]// 000000003C78: D3F30040 1D022934
	v_mfma_f32_16x16x32_fp8_fp8 v[64:67], a[54:55], a[22:23], v[64:67]// 000000003C80: D3F30040 1D022D36
	v_mfma_f32_16x16x32_fp8_fp8 v[72:75], a[56:57], a[16:17], v[72:75]// 000000003C88: D3F30048 1D222138
	v_mfma_f32_16x16x32_fp8_fp8 v[72:75], a[58:59], a[18:19], v[72:75]// 000000003C90: D3F30048 1D22253A
	buffer_load_dwordx4 a[108:111], v43, s[24:27], 0 offen offset:1024// 000000003C98: E05C1400 80866C2B
	v_mfma_f32_16x16x32_fp8_fp8 v[72:75], a[60:61], a[20:21], v[72:75]// 000000003CA0: D3F30048 1D22293C
	v_mfma_f32_16x16x32_fp8_fp8 v[72:75], a[62:63], a[22:23], v[72:75]// 000000003CA8: D3F30048 1D222D3E
	v_mfma_f32_16x16x32_fp8_fp8 v[52:55], a[32:33], a[24:25], v[52:55]// 000000003CB0: D3F30034 1CD23120
	v_mfma_f32_16x16x32_fp8_fp8 v[52:55], a[34:35], a[26:27], v[52:55]// 000000003CB8: D3F30034 1CD23522
	buffer_load_dwordx4 a[112:115], v44, s[24:27], 0 offen     // 000000003CC0: E05C1000 8086702C
	v_mfma_f32_16x16x32_fp8_fp8 v[52:55], a[36:37], a[28:29], v[52:55]// 000000003CC8: D3F30034 1CD23924
	v_mfma_f32_16x16x32_fp8_fp8 v[52:55], a[38:39], a[30:31], v[52:55]// 000000003CD0: D3F30034 1CD23D26
	v_mfma_f32_16x16x32_fp8_fp8 v[60:63], a[40:41], a[24:25], v[60:63]// 000000003CD8: D3F3003C 1CF23128
	v_mfma_f32_16x16x32_fp8_fp8 v[60:63], a[42:43], a[26:27], v[60:63]// 000000003CE0: D3F3003C 1CF2352A
	buffer_load_dwordx4 a[116:119], v44, s[24:27], 0 offen offset:1024// 000000003CE8: E05C1400 8086742C
	v_mfma_f32_16x16x32_fp8_fp8 v[60:63], a[44:45], a[28:29], v[60:63]// 000000003CF0: D3F3003C 1CF2392C
	v_mfma_f32_16x16x32_fp8_fp8 v[60:63], a[46:47], a[30:31], v[60:63]// 000000003CF8: D3F3003C 1CF23D2E
	v_mfma_f32_16x16x32_fp8_fp8 v[68:71], a[48:49], a[24:25], v[68:71]// 000000003D00: D3F30044 1D123130
	v_mfma_f32_16x16x32_fp8_fp8 v[68:71], a[50:51], a[26:27], v[68:71]// 000000003D08: D3F30044 1D123532
	buffer_load_dwordx4 a[120:123], v45, s[24:27], 0 offen     // 000000003D10: E05C1000 8086782D
	v_mfma_f32_16x16x32_fp8_fp8 v[68:71], a[52:53], a[28:29], v[68:71]// 000000003D18: D3F30044 1D123934
	v_mfma_f32_16x16x32_fp8_fp8 v[68:71], a[54:55], a[30:31], v[68:71]// 000000003D20: D3F30044 1D123D36
	v_mfma_f32_16x16x32_fp8_fp8 v[76:79], a[56:57], a[24:25], v[76:79]// 000000003D28: D3F3004C 1D323138
	v_mfma_f32_16x16x32_fp8_fp8 v[76:79], a[58:59], a[26:27], v[76:79]// 000000003D30: D3F3004C 1D32353A
	buffer_load_dwordx4 a[124:127], v45, s[24:27], 0 offen offset:1024// 000000003D38: E05C1400 80867C2D
	buffer_load_dword v38, s[20:23], 0 offen lds               // 000000003D40: E0511000 80050026
	s_add_u32 m0, 0x100, s50                                   // 000000003D48: 807C32FF 00000100
	v_mfma_f32_16x16x32_fp8_fp8 v[76:79], a[60:61], a[28:29], v[76:79]// 000000003D50: D3F3004C 1D32393C
	v_mfma_f32_16x16x32_fp8_fp8 v[76:79], a[62:63], a[30:31], v[76:79]// 000000003D58: D3F3004C 1D323D3E
	buffer_load_dword v39, s[20:23], 0 offen lds               // 000000003D60: E0511000 80050027
	s_add_u32 m0, 0x200, s50                                   // 000000003D68: 807C32FF 00000200
	buffer_load_dword v40, s[20:23], 0 offen lds               // 000000003D70: E0511000 80050028
	s_add_u32 m0, 0x300, s50                                   // 000000003D78: 807C32FF 00000300
	buffer_load_dword v41, s[20:23], 0 offen lds               // 000000003D80: E0511000 80050029
	s_add_u32 m0, 0, s48                                       // 000000003D88: 807C3080
	s_waitcnt vmcnt(12)                                        // 000000003D8C: BF8C0F7C
	s_barrier                                                  // 000000003D90: BF8A0000
	v_mfma_f32_16x16x32_fp8_fp8 v[80:83], a[64:65], a[16:17], v[80:83]// 000000003D94: D3F30050 1D422140
	v_mfma_f32_16x16x32_fp8_fp8 v[80:83], a[66:67], a[18:19], v[80:83]// 000000003D9C: D3F30050 1D422542
	buffer_load_dwordx4 a[32:35], v42, s[84:87], 0 offen       // 000000003DA4: E05C1000 8095202A
	v_mfma_f32_16x16x32_fp8_fp8 v[80:83], a[68:69], a[20:21], v[80:83]// 000000003DAC: D3F30050 1D422944
	v_mfma_f32_16x16x32_fp8_fp8 v[80:83], a[70:71], a[22:23], v[80:83]// 000000003DB4: D3F30050 1D422D46
	ds_read_b128 a[0:3], v2 offset:4224                        // 000000003DBC: DBFE1080 00000002
	ds_read_b128 a[4:7], v2 offset:4288                        // 000000003DC4: DBFE10C0 04000002
	v_mfma_f32_16x16x32_fp8_fp8 v[88:91], a[72:73], a[16:17], v[88:91]// 000000003DCC: D3F30058 1D622148
	v_mfma_f32_16x16x32_fp8_fp8 v[88:91], a[74:75], a[18:19], v[88:91]// 000000003DD4: D3F30058 1D62254A
	buffer_load_dwordx4 a[36:39], v42, s[84:87], 0 offen offset:1024// 000000003DDC: E05C1400 8095242A
	v_mfma_f32_16x16x32_fp8_fp8 v[88:91], a[76:77], a[20:21], v[88:91]// 000000003DE4: D3F30058 1D62294C
	v_mfma_f32_16x16x32_fp8_fp8 v[88:91], a[78:79], a[22:23], v[88:91]// 000000003DEC: D3F30058 1D622D4E
	ds_read_b128 a[8:11], v2 offset:4736                       // 000000003DF4: DBFE1280 08000002
	ds_read_b128 a[12:15], v2 offset:4800                      // 000000003DFC: DBFE12C0 0C000002
	v_mfma_f32_16x16x32_fp8_fp8 v[96:99], a[80:81], a[16:17], v[96:99]// 000000003E04: D3F30060 1D822150
	v_mfma_f32_16x16x32_fp8_fp8 v[96:99], a[82:83], a[18:19], v[96:99]// 000000003E0C: D3F30060 1D822552
	buffer_load_dwordx4 a[40:43], v43, s[84:87], 0 offen       // 000000003E14: E05C1000 8095282B
	v_mfma_f32_16x16x32_fp8_fp8 v[96:99], a[84:85], a[20:21], v[96:99]// 000000003E1C: D3F30060 1D822954
	v_mfma_f32_16x16x32_fp8_fp8 v[96:99], a[86:87], a[22:23], v[96:99]// 000000003E24: D3F30060 1D822D56
	v_mfma_f32_16x16x32_fp8_fp8 v[104:107], a[88:89], a[16:17], v[104:107]// 000000003E2C: D3F30068 1DA22158
	v_mfma_f32_16x16x32_fp8_fp8 v[104:107], a[90:91], a[18:19], v[104:107]// 000000003E34: D3F30068 1DA2255A
	buffer_load_dwordx4 a[44:47], v43, s[84:87], 0 offen offset:1024// 000000003E3C: E05C1400 80952C2B
	v_mfma_f32_16x16x32_fp8_fp8 v[104:107], a[92:93], a[20:21], v[104:107]// 000000003E44: D3F30068 1DA2295C
	v_mfma_f32_16x16x32_fp8_fp8 v[104:107], a[94:95], a[22:23], v[104:107]// 000000003E4C: D3F30068 1DA22D5E
	v_mfma_f32_16x16x32_fp8_fp8 v[84:87], a[64:65], a[24:25], v[84:87]// 000000003E54: D3F30054 1D523140
	v_mfma_f32_16x16x32_fp8_fp8 v[84:87], a[66:67], a[26:27], v[84:87]// 000000003E5C: D3F30054 1D523542
	buffer_load_dwordx4 a[48:51], v44, s[84:87], 0 offen       // 000000003E64: E05C1000 8095302C
	v_mfma_f32_16x16x32_fp8_fp8 v[84:87], a[68:69], a[28:29], v[84:87]// 000000003E6C: D3F30054 1D523944
	v_mfma_f32_16x16x32_fp8_fp8 v[84:87], a[70:71], a[30:31], v[84:87]// 000000003E74: D3F30054 1D523D46
	v_mfma_f32_16x16x32_fp8_fp8 v[92:95], a[72:73], a[24:25], v[92:95]// 000000003E7C: D3F3005C 1D723148
	v_mfma_f32_16x16x32_fp8_fp8 v[92:95], a[74:75], a[26:27], v[92:95]// 000000003E84: D3F3005C 1D72354A
	buffer_load_dwordx4 a[52:55], v44, s[84:87], 0 offen offset:1024// 000000003E8C: E05C1400 8095342C
	v_mfma_f32_16x16x32_fp8_fp8 v[92:95], a[76:77], a[28:29], v[92:95]// 000000003E94: D3F3005C 1D72394C
	v_mfma_f32_16x16x32_fp8_fp8 v[92:95], a[78:79], a[30:31], v[92:95]// 000000003E9C: D3F3005C 1D723D4E
	v_mfma_f32_16x16x32_fp8_fp8 v[100:103], a[80:81], a[24:25], v[100:103]// 000000003EA4: D3F30064 1D923150
	s_add_u32 s60, 0x180, s80                                  // 000000003EAC: 803C50FF 00000180
	s_cmp_lt_u32 s60, s81                                      // 000000003EB4: BF0A513C
	s_cselect_b32 s57, s57, 0                                  // 000000003EB8: 85398039
	v_mfma_f32_16x16x32_fp8_fp8 v[100:103], a[82:83], a[26:27], v[100:103]// 000000003EBC: D3F30064 1D923552
	buffer_load_dwordx4 a[56:59], v45, s[84:87], 0 offen       // 000000003EC4: E05C1000 8095382D
	s_add_u32 s60, 0x100, s80                                  // 000000003ECC: 803C50FF 00000100
	s_cmp_lt_u32 s60, s81                                      // 000000003ED4: BF0A513C
	s_cselect_b32 s58, s58, 0                                  // 000000003ED8: 853A803A
	v_mfma_f32_16x16x32_fp8_fp8 v[100:103], a[84:85], a[28:29], v[100:103]// 000000003EDC: D3F30064 1D923954
	s_add_u32 s60, 0x100, s80                                  // 000000003EE4: 803C50FF 00000100
	s_cmp_lt_u32 s60, s81                                      // 000000003EEC: BF0A513C
	s_cselect_b32 s83, s83, 0                                  // 000000003EF0: 85538053
	v_mfma_f32_16x16x32_fp8_fp8 v[100:103], a[86:87], a[30:31], v[100:103]// 000000003EF4: D3F30064 1D923D56
	s_add_u32 s24, s58, s24                                    // 000000003EFC: 8018183A
	s_addc_u32 s25, 0, s25                                     // 000000003F00: 82191980
	v_mfma_f32_16x16x32_fp8_fp8 v[108:111], a[88:89], a[24:25], v[108:111]// 000000003F04: D3F3006C 1DB23158
	s_add_u32 s20, s57, s20                                    // 000000003F0C: 80141439
	s_addc_u32 s21, 0, s21                                     // 000000003F10: 82151580
	v_mfma_f32_16x16x32_fp8_fp8 v[108:111], a[90:91], a[26:27], v[108:111]// 000000003F14: D3F3006C 1DB2355A
	buffer_load_dwordx4 a[60:63], v45, s[84:87], 0 offen offset:1024// 000000003F1C: E05C1400 80953C2D
	s_add_u32 s84, s83, s84                                    // 000000003F24: 80545453
	s_addc_u32 s85, 0, s85                                     // 000000003F28: 82555580
	v_mfma_f32_16x16x32_fp8_fp8 v[108:111], a[92:93], a[28:29], v[108:111]// 000000003F2C: D3F3006C 1DB2395C
	v_mfma_f32_16x16x32_fp8_fp8 v[108:111], a[94:95], a[30:31], v[108:111]// 000000003F34: D3F3006C 1DB23D5E
	s_addk_i32 s80, 0x80                                       // 000000003F3C: B7500080
	s_cmp_lt_i32 s80, s81                                      // 000000003F40: BF045150
	s_cbranch_scc0 label_06F1                                  // 000000003F44: BF84019F
	s_waitcnt vmcnt(12) lgkmcnt(0)                             // 000000003F48: BF8C007C
	v_mfma_f32_16x16x32_fp8_fp8 v[48:51], a[96:97], a[0:1], v[48:51]// 000000003F4C: D3F30030 1CC20160
	v_mfma_f32_16x16x32_fp8_fp8 v[48:51], a[98:99], a[2:3], v[48:51]// 000000003F54: D3F30030 1CC20562
	buffer_load_dwordx4 a[64:67], v42, s[24:27], 0 offen       // 000000003F5C: E05C1000 8086402A
	v_mfma_f32_16x16x32_fp8_fp8 v[48:51], a[100:101], a[4:5], v[48:51]// 000000003F64: D3F30030 1CC20964
	v_mfma_f32_16x16x32_fp8_fp8 v[48:51], a[102:103], a[6:7], v[48:51]// 000000003F6C: D3F30030 1CC20D66
	v_mfma_f32_16x16x32_fp8_fp8 v[56:59], a[104:105], a[0:1], v[56:59]// 000000003F74: D3F30038 1CE20168
	v_mfma_f32_16x16x32_fp8_fp8 v[56:59], a[106:107], a[2:3], v[56:59]// 000000003F7C: D3F30038 1CE2056A
	buffer_load_dwordx4 a[68:71], v42, s[24:27], 0 offen offset:1024// 000000003F84: E05C1400 8086442A
	v_mfma_f32_16x16x32_fp8_fp8 v[56:59], a[108:109], a[4:5], v[56:59]// 000000003F8C: D3F30038 1CE2096C
	v_mfma_f32_16x16x32_fp8_fp8 v[56:59], a[110:111], a[6:7], v[56:59]// 000000003F94: D3F30038 1CE20D6E
	v_mfma_f32_16x16x32_fp8_fp8 v[64:67], a[112:113], a[0:1], v[64:67]// 000000003F9C: D3F30040 1D020170
	v_mfma_f32_16x16x32_fp8_fp8 v[64:67], a[114:115], a[2:3], v[64:67]// 000000003FA4: D3F30040 1D020572
	buffer_load_dwordx4 a[72:75], v43, s[24:27], 0 offen       // 000000003FAC: E05C1000 8086482B
	v_mfma_f32_16x16x32_fp8_fp8 v[64:67], a[116:117], a[4:5], v[64:67]// 000000003FB4: D3F30040 1D020974
	v_mfma_f32_16x16x32_fp8_fp8 v[64:67], a[118:119], a[6:7], v[64:67]// 000000003FBC: D3F30040 1D020D76
	v_mfma_f32_16x16x32_fp8_fp8 v[72:75], a[120:121], a[0:1], v[72:75]// 000000003FC4: D3F30048 1D220178
	v_mfma_f32_16x16x32_fp8_fp8 v[72:75], a[122:123], a[2:3], v[72:75]// 000000003FCC: D3F30048 1D22057A
	buffer_load_dwordx4 a[76:79], v43, s[24:27], 0 offen offset:1024// 000000003FD4: E05C1400 80864C2B
	v_mfma_f32_16x16x32_fp8_fp8 v[72:75], a[124:125], a[4:5], v[72:75]// 000000003FDC: D3F30048 1D22097C
	v_mfma_f32_16x16x32_fp8_fp8 v[72:75], a[126:127], a[6:7], v[72:75]// 000000003FE4: D3F30048 1D220D7E
	v_mfma_f32_16x16x32_fp8_fp8 v[52:55], a[96:97], a[8:9], v[52:55]// 000000003FEC: D3F30034 1CD21160
	v_mfma_f32_16x16x32_fp8_fp8 v[52:55], a[98:99], a[10:11], v[52:55]// 000000003FF4: D3F30034 1CD21562
	buffer_load_dwordx4 a[80:83], v44, s[24:27], 0 offen       // 000000003FFC: E05C1000 8086502C
	v_mfma_f32_16x16x32_fp8_fp8 v[52:55], a[100:101], a[12:13], v[52:55]// 000000004004: D3F30034 1CD21964
	v_mfma_f32_16x16x32_fp8_fp8 v[52:55], a[102:103], a[14:15], v[52:55]// 00000000400C: D3F30034 1CD21D66
	v_mfma_f32_16x16x32_fp8_fp8 v[60:63], a[104:105], a[8:9], v[60:63]// 000000004014: D3F3003C 1CF21168
	v_mfma_f32_16x16x32_fp8_fp8 v[60:63], a[106:107], a[10:11], v[60:63]// 00000000401C: D3F3003C 1CF2156A
	buffer_load_dwordx4 a[84:87], v44, s[24:27], 0 offen offset:1024// 000000004024: E05C1400 8086542C
	v_mfma_f32_16x16x32_fp8_fp8 v[60:63], a[108:109], a[12:13], v[60:63]// 00000000402C: D3F3003C 1CF2196C
	v_mfma_f32_16x16x32_fp8_fp8 v[60:63], a[110:111], a[14:15], v[60:63]// 000000004034: D3F3003C 1CF21D6E
	v_mfma_f32_16x16x32_fp8_fp8 v[68:71], a[112:113], a[8:9], v[68:71]// 00000000403C: D3F30044 1D121170
	v_mfma_f32_16x16x32_fp8_fp8 v[68:71], a[114:115], a[10:11], v[68:71]// 000000004044: D3F30044 1D121572
	buffer_load_dwordx4 a[88:91], v45, s[24:27], 0 offen       // 00000000404C: E05C1000 8086582D
	v_mfma_f32_16x16x32_fp8_fp8 v[68:71], a[116:117], a[12:13], v[68:71]// 000000004054: D3F30044 1D121974
	v_mfma_f32_16x16x32_fp8_fp8 v[68:71], a[118:119], a[14:15], v[68:71]// 00000000405C: D3F30044 1D121D76
	v_mfma_f32_16x16x32_fp8_fp8 v[76:79], a[120:121], a[8:9], v[76:79]// 000000004064: D3F3004C 1D321178
	v_mfma_f32_16x16x32_fp8_fp8 v[76:79], a[122:123], a[10:11], v[76:79]// 00000000406C: D3F3004C 1D32157A
	buffer_load_dwordx4 a[92:95], v45, s[24:27], 0 offen offset:1024// 000000004074: E05C1400 80865C2D
	buffer_load_dword v38, s[20:23], 0 offen lds               // 00000000407C: E0511000 80050026
	s_add_u32 m0, 0x100, s48                                   // 000000004084: 807C30FF 00000100
	v_mfma_f32_16x16x32_fp8_fp8 v[76:79], a[124:125], a[12:13], v[76:79]// 00000000408C: D3F3004C 1D32197C
	v_mfma_f32_16x16x32_fp8_fp8 v[76:79], a[126:127], a[14:15], v[76:79]// 000000004094: D3F3004C 1D321D7E
	buffer_load_dword v39, s[20:23], 0 offen lds               // 00000000409C: E0511000 80050027
	s_add_u32 m0, 0x200, s48                                   // 0000000040A4: 807C30FF 00000200
	buffer_load_dword v40, s[20:23], 0 offen lds               // 0000000040AC: E0511000 80050028
	s_add_u32 m0, 0x300, s48                                   // 0000000040B4: 807C30FF 00000300
	buffer_load_dword v41, s[20:23], 0 offen lds               // 0000000040BC: E0511000 80050029
	s_add_u32 m0, 0, s49                                       // 0000000040C4: 807C3180
	s_waitcnt vmcnt(12)                                        // 0000000040C8: BF8C0F7C
	s_barrier                                                  // 0000000040CC: BF8A0000
	v_mfma_f32_16x16x32_fp8_fp8 v[80:83], a[32:33], a[0:1], v[80:83]// 0000000040D0: D3F30050 1D420120
	v_mfma_f32_16x16x32_fp8_fp8 v[80:83], a[34:35], a[2:3], v[80:83]// 0000000040D8: D3F30050 1D420522
	buffer_load_dwordx4 a[96:99], v42, s[84:87], 0 offen       // 0000000040E0: E05C1000 8095602A
	v_mfma_f32_16x16x32_fp8_fp8 v[80:83], a[36:37], a[4:5], v[80:83]// 0000000040E8: D3F30050 1D420924
	v_mfma_f32_16x16x32_fp8_fp8 v[80:83], a[38:39], a[6:7], v[80:83]// 0000000040F0: D3F30050 1D420D26
	ds_read_b128 a[16:19], v2 offset:8448                      // 0000000040F8: DBFE2100 10000002
	ds_read_b128 a[20:23], v2 offset:8512                      // 000000004100: DBFE2140 14000002
	v_mfma_f32_16x16x32_fp8_fp8 v[88:91], a[40:41], a[0:1], v[88:91]// 000000004108: D3F30058 1D620128
	v_mfma_f32_16x16x32_fp8_fp8 v[88:91], a[42:43], a[2:3], v[88:91]// 000000004110: D3F30058 1D62052A
	buffer_load_dwordx4 a[100:103], v42, s[84:87], 0 offen offset:1024// 000000004118: E05C1400 8095642A
	v_mfma_f32_16x16x32_fp8_fp8 v[88:91], a[44:45], a[4:5], v[88:91]// 000000004120: D3F30058 1D62092C
	v_mfma_f32_16x16x32_fp8_fp8 v[88:91], a[46:47], a[6:7], v[88:91]// 000000004128: D3F30058 1D620D2E
	ds_read_b128 a[24:27], v2 offset:8960                      // 000000004130: DBFE2300 18000002
	ds_read_b128 a[28:31], v2 offset:9024                      // 000000004138: DBFE2340 1C000002
	v_mfma_f32_16x16x32_fp8_fp8 v[96:99], a[48:49], a[0:1], v[96:99]// 000000004140: D3F30060 1D820130
	v_mfma_f32_16x16x32_fp8_fp8 v[96:99], a[50:51], a[2:3], v[96:99]// 000000004148: D3F30060 1D820532
	buffer_load_dwordx4 a[104:107], v43, s[84:87], 0 offen     // 000000004150: E05C1000 8095682B
	v_mfma_f32_16x16x32_fp8_fp8 v[96:99], a[52:53], a[4:5], v[96:99]// 000000004158: D3F30060 1D820934
	v_mfma_f32_16x16x32_fp8_fp8 v[96:99], a[54:55], a[6:7], v[96:99]// 000000004160: D3F30060 1D820D36
	v_mfma_f32_16x16x32_fp8_fp8 v[104:107], a[56:57], a[0:1], v[104:107]// 000000004168: D3F30068 1DA20138
	v_mfma_f32_16x16x32_fp8_fp8 v[104:107], a[58:59], a[2:3], v[104:107]// 000000004170: D3F30068 1DA2053A
	buffer_load_dwordx4 a[108:111], v43, s[84:87], 0 offen offset:1024// 000000004178: E05C1400 80956C2B
	v_mfma_f32_16x16x32_fp8_fp8 v[104:107], a[60:61], a[4:5], v[104:107]// 000000004180: D3F30068 1DA2093C
	v_mfma_f32_16x16x32_fp8_fp8 v[104:107], a[62:63], a[6:7], v[104:107]// 000000004188: D3F30068 1DA20D3E
	v_mfma_f32_16x16x32_fp8_fp8 v[84:87], a[32:33], a[8:9], v[84:87]// 000000004190: D3F30054 1D521120
	v_mfma_f32_16x16x32_fp8_fp8 v[84:87], a[34:35], a[10:11], v[84:87]// 000000004198: D3F30054 1D521522
	buffer_load_dwordx4 a[112:115], v44, s[84:87], 0 offen     // 0000000041A0: E05C1000 8095702C
	v_mfma_f32_16x16x32_fp8_fp8 v[84:87], a[36:37], a[12:13], v[84:87]// 0000000041A8: D3F30054 1D521924
	v_mfma_f32_16x16x32_fp8_fp8 v[84:87], a[38:39], a[14:15], v[84:87]// 0000000041B0: D3F30054 1D521D26
	v_mfma_f32_16x16x32_fp8_fp8 v[92:95], a[40:41], a[8:9], v[92:95]// 0000000041B8: D3F3005C 1D721128
	v_mfma_f32_16x16x32_fp8_fp8 v[92:95], a[42:43], a[10:11], v[92:95]// 0000000041C0: D3F3005C 1D72152A
	buffer_load_dwordx4 a[116:119], v44, s[84:87], 0 offen offset:1024// 0000000041C8: E05C1400 8095742C
	v_mfma_f32_16x16x32_fp8_fp8 v[92:95], a[44:45], a[12:13], v[92:95]// 0000000041D0: D3F3005C 1D72192C
	v_mfma_f32_16x16x32_fp8_fp8 v[92:95], a[46:47], a[14:15], v[92:95]// 0000000041D8: D3F3005C 1D721D2E
	v_mfma_f32_16x16x32_fp8_fp8 v[100:103], a[48:49], a[8:9], v[100:103]// 0000000041E0: D3F30064 1D921130
	s_add_u32 s60, 0x180, s80                                  // 0000000041E8: 803C50FF 00000180
	s_cmp_lt_u32 s60, s81                                      // 0000000041F0: BF0A513C
	s_cselect_b32 s57, s57, 0                                  // 0000000041F4: 85398039
	v_mfma_f32_16x16x32_fp8_fp8 v[100:103], a[50:51], a[10:11], v[100:103]// 0000000041F8: D3F30064 1D921532
	buffer_load_dwordx4 a[120:123], v45, s[84:87], 0 offen     // 000000004200: E05C1000 8095782D
	s_add_u32 s60, 0x100, s80                                  // 000000004208: 803C50FF 00000100
	s_cmp_lt_u32 s60, s81                                      // 000000004210: BF0A513C
	s_cselect_b32 s58, s58, 0                                  // 000000004214: 853A803A
	v_mfma_f32_16x16x32_fp8_fp8 v[100:103], a[52:53], a[12:13], v[100:103]// 000000004218: D3F30064 1D921934
	s_add_u32 s60, 0x100, s80                                  // 000000004220: 803C50FF 00000100
	s_cmp_lt_u32 s60, s81                                      // 000000004228: BF0A513C
	s_cselect_b32 s83, s83, 0                                  // 00000000422C: 85538053
	v_mfma_f32_16x16x32_fp8_fp8 v[100:103], a[54:55], a[14:15], v[100:103]// 000000004230: D3F30064 1D921D36
	s_add_u32 s24, s58, s24                                    // 000000004238: 8018183A
	s_addc_u32 s25, 0, s25                                     // 00000000423C: 82191980
	v_mfma_f32_16x16x32_fp8_fp8 v[108:111], a[56:57], a[8:9], v[108:111]// 000000004240: D3F3006C 1DB21138
	s_add_u32 s20, s57, s20                                    // 000000004248: 80141439
	s_addc_u32 s21, 0, s21                                     // 00000000424C: 82151580
	v_mfma_f32_16x16x32_fp8_fp8 v[108:111], a[58:59], a[10:11], v[108:111]// 000000004250: D3F3006C 1DB2153A
	buffer_load_dwordx4 a[124:127], v45, s[84:87], 0 offen offset:1024// 000000004258: E05C1400 80957C2D
	s_add_u32 s84, s83, s84                                    // 000000004260: 80545453
	s_addc_u32 s85, 0, s85                                     // 000000004264: 82555580
	v_mfma_f32_16x16x32_fp8_fp8 v[108:111], a[60:61], a[12:13], v[108:111]// 000000004268: D3F3006C 1DB2193C
	v_mfma_f32_16x16x32_fp8_fp8 v[108:111], a[62:63], a[14:15], v[108:111]// 000000004270: D3F3006C 1DB21D3E
	s_addk_i32 s80, 0x80                                       // 000000004278: B7500080
	s_cmp_lt_i32 s80, s81                                      // 00000000427C: BF045150
	s_cbranch_scc0 label_06F1                                  // 000000004280: BF8400D0
	s_waitcnt vmcnt(12) lgkmcnt(0)                             // 000000004284: BF8C007C
	v_mfma_f32_16x16x32_fp8_fp8 v[48:51], a[64:65], a[16:17], v[48:51]// 000000004288: D3F30030 1CC22140
	v_mfma_f32_16x16x32_fp8_fp8 v[48:51], a[66:67], a[18:19], v[48:51]// 000000004290: D3F30030 1CC22542
	buffer_load_dwordx4 a[32:35], v42, s[24:27], 0 offen       // 000000004298: E05C1000 8086202A
	v_mfma_f32_16x16x32_fp8_fp8 v[48:51], a[68:69], a[20:21], v[48:51]// 0000000042A0: D3F30030 1CC22944
	v_mfma_f32_16x16x32_fp8_fp8 v[48:51], a[70:71], a[22:23], v[48:51]// 0000000042A8: D3F30030 1CC22D46
	v_mfma_f32_16x16x32_fp8_fp8 v[56:59], a[72:73], a[16:17], v[56:59]// 0000000042B0: D3F30038 1CE22148
	v_mfma_f32_16x16x32_fp8_fp8 v[56:59], a[74:75], a[18:19], v[56:59]// 0000000042B8: D3F30038 1CE2254A
	buffer_load_dwordx4 a[36:39], v42, s[24:27], 0 offen offset:1024// 0000000042C0: E05C1400 8086242A
	v_mfma_f32_16x16x32_fp8_fp8 v[56:59], a[76:77], a[20:21], v[56:59]// 0000000042C8: D3F30038 1CE2294C
	v_mfma_f32_16x16x32_fp8_fp8 v[56:59], a[78:79], a[22:23], v[56:59]// 0000000042D0: D3F30038 1CE22D4E
	v_mfma_f32_16x16x32_fp8_fp8 v[64:67], a[80:81], a[16:17], v[64:67]// 0000000042D8: D3F30040 1D022150
	v_mfma_f32_16x16x32_fp8_fp8 v[64:67], a[82:83], a[18:19], v[64:67]// 0000000042E0: D3F30040 1D022552
	buffer_load_dwordx4 a[40:43], v43, s[24:27], 0 offen       // 0000000042E8: E05C1000 8086282B
	v_mfma_f32_16x16x32_fp8_fp8 v[64:67], a[84:85], a[20:21], v[64:67]// 0000000042F0: D3F30040 1D022954
	v_mfma_f32_16x16x32_fp8_fp8 v[64:67], a[86:87], a[22:23], v[64:67]// 0000000042F8: D3F30040 1D022D56
	v_mfma_f32_16x16x32_fp8_fp8 v[72:75], a[88:89], a[16:17], v[72:75]// 000000004300: D3F30048 1D222158
	v_mfma_f32_16x16x32_fp8_fp8 v[72:75], a[90:91], a[18:19], v[72:75]// 000000004308: D3F30048 1D22255A
	buffer_load_dwordx4 a[44:47], v43, s[24:27], 0 offen offset:1024// 000000004310: E05C1400 80862C2B
	v_mfma_f32_16x16x32_fp8_fp8 v[72:75], a[92:93], a[20:21], v[72:75]// 000000004318: D3F30048 1D22295C
	v_mfma_f32_16x16x32_fp8_fp8 v[72:75], a[94:95], a[22:23], v[72:75]// 000000004320: D3F30048 1D222D5E
	v_mfma_f32_16x16x32_fp8_fp8 v[52:55], a[64:65], a[24:25], v[52:55]// 000000004328: D3F30034 1CD23140
	v_mfma_f32_16x16x32_fp8_fp8 v[52:55], a[66:67], a[26:27], v[52:55]// 000000004330: D3F30034 1CD23542
	buffer_load_dwordx4 a[48:51], v44, s[24:27], 0 offen       // 000000004338: E05C1000 8086302C
	v_mfma_f32_16x16x32_fp8_fp8 v[52:55], a[68:69], a[28:29], v[52:55]// 000000004340: D3F30034 1CD23944
	v_mfma_f32_16x16x32_fp8_fp8 v[52:55], a[70:71], a[30:31], v[52:55]// 000000004348: D3F30034 1CD23D46
	v_mfma_f32_16x16x32_fp8_fp8 v[60:63], a[72:73], a[24:25], v[60:63]// 000000004350: D3F3003C 1CF23148
	v_mfma_f32_16x16x32_fp8_fp8 v[60:63], a[74:75], a[26:27], v[60:63]// 000000004358: D3F3003C 1CF2354A
	buffer_load_dwordx4 a[52:55], v44, s[24:27], 0 offen offset:1024// 000000004360: E05C1400 8086342C
	v_mfma_f32_16x16x32_fp8_fp8 v[60:63], a[76:77], a[28:29], v[60:63]// 000000004368: D3F3003C 1CF2394C
	v_mfma_f32_16x16x32_fp8_fp8 v[60:63], a[78:79], a[30:31], v[60:63]// 000000004370: D3F3003C 1CF23D4E
	v_mfma_f32_16x16x32_fp8_fp8 v[68:71], a[80:81], a[24:25], v[68:71]// 000000004378: D3F30044 1D123150
	v_mfma_f32_16x16x32_fp8_fp8 v[68:71], a[82:83], a[26:27], v[68:71]// 000000004380: D3F30044 1D123552
	buffer_load_dwordx4 a[56:59], v45, s[24:27], 0 offen       // 000000004388: E05C1000 8086382D
	v_mfma_f32_16x16x32_fp8_fp8 v[68:71], a[84:85], a[28:29], v[68:71]// 000000004390: D3F30044 1D123954
	v_mfma_f32_16x16x32_fp8_fp8 v[68:71], a[86:87], a[30:31], v[68:71]// 000000004398: D3F30044 1D123D56
	v_mfma_f32_16x16x32_fp8_fp8 v[76:79], a[88:89], a[24:25], v[76:79]// 0000000043A0: D3F3004C 1D323158
	v_mfma_f32_16x16x32_fp8_fp8 v[76:79], a[90:91], a[26:27], v[76:79]// 0000000043A8: D3F3004C 1D32355A
	buffer_load_dwordx4 a[60:63], v45, s[24:27], 0 offen offset:1024// 0000000043B0: E05C1400 80863C2D
	buffer_load_dword v38, s[20:23], 0 offen lds               // 0000000043B8: E0511000 80050026
	s_add_u32 m0, 0x100, s49                                   // 0000000043C0: 807C31FF 00000100
	v_mfma_f32_16x16x32_fp8_fp8 v[76:79], a[92:93], a[28:29], v[76:79]// 0000000043C8: D3F3004C 1D32395C
	v_mfma_f32_16x16x32_fp8_fp8 v[76:79], a[94:95], a[30:31], v[76:79]// 0000000043D0: D3F3004C 1D323D5E
	buffer_load_dword v39, s[20:23], 0 offen lds               // 0000000043D8: E0511000 80050027
	s_add_u32 m0, 0x200, s49                                   // 0000000043E0: 807C31FF 00000200
	buffer_load_dword v40, s[20:23], 0 offen lds               // 0000000043E8: E0511000 80050028
	s_add_u32 m0, 0x300, s49                                   // 0000000043F0: 807C31FF 00000300
	buffer_load_dword v41, s[20:23], 0 offen lds               // 0000000043F8: E0511000 80050029
	s_add_u32 m0, 0, s50                                       // 000000004400: 807C3280
	s_waitcnt vmcnt(12)                                        // 000000004404: BF8C0F7C
	s_barrier                                                  // 000000004408: BF8A0000
	v_mfma_f32_16x16x32_fp8_fp8 v[80:83], a[96:97], a[16:17], v[80:83]// 00000000440C: D3F30050 1D422160
	v_mfma_f32_16x16x32_fp8_fp8 v[80:83], a[98:99], a[18:19], v[80:83]// 000000004414: D3F30050 1D422562
	buffer_load_dwordx4 a[64:67], v42, s[84:87], 0 offen       // 00000000441C: E05C1000 8095402A
	v_mfma_f32_16x16x32_fp8_fp8 v[80:83], a[100:101], a[20:21], v[80:83]// 000000004424: D3F30050 1D422964
	v_mfma_f32_16x16x32_fp8_fp8 v[80:83], a[102:103], a[22:23], v[80:83]// 00000000442C: D3F30050 1D422D66
	ds_read_b128 a[0:3], v2                                    // 000000004434: DBFE0000 00000002
	ds_read_b128 a[4:7], v2 offset:64                          // 00000000443C: DBFE0040 04000002
	v_mfma_f32_16x16x32_fp8_fp8 v[88:91], a[104:105], a[16:17], v[88:91]// 000000004444: D3F30058 1D622168
	v_mfma_f32_16x16x32_fp8_fp8 v[88:91], a[106:107], a[18:19], v[88:91]// 00000000444C: D3F30058 1D62256A
	buffer_load_dwordx4 a[68:71], v42, s[84:87], 0 offen offset:1024// 000000004454: E05C1400 8095442A
	v_mfma_f32_16x16x32_fp8_fp8 v[88:91], a[108:109], a[20:21], v[88:91]// 00000000445C: D3F30058 1D62296C
	v_mfma_f32_16x16x32_fp8_fp8 v[88:91], a[110:111], a[22:23], v[88:91]// 000000004464: D3F30058 1D622D6E
	ds_read_b128 a[8:11], v2 offset:512                        // 00000000446C: DBFE0200 08000002
	ds_read_b128 a[12:15], v2 offset:576                       // 000000004474: DBFE0240 0C000002
	v_mfma_f32_16x16x32_fp8_fp8 v[96:99], a[112:113], a[16:17], v[96:99]// 00000000447C: D3F30060 1D822170
	v_mfma_f32_16x16x32_fp8_fp8 v[96:99], a[114:115], a[18:19], v[96:99]// 000000004484: D3F30060 1D822572
	buffer_load_dwordx4 a[72:75], v43, s[84:87], 0 offen       // 00000000448C: E05C1000 8095482B
	v_mfma_f32_16x16x32_fp8_fp8 v[96:99], a[116:117], a[20:21], v[96:99]// 000000004494: D3F30060 1D822974
	v_mfma_f32_16x16x32_fp8_fp8 v[96:99], a[118:119], a[22:23], v[96:99]// 00000000449C: D3F30060 1D822D76
	v_mfma_f32_16x16x32_fp8_fp8 v[104:107], a[120:121], a[16:17], v[104:107]// 0000000044A4: D3F30068 1DA22178
	v_mfma_f32_16x16x32_fp8_fp8 v[104:107], a[122:123], a[18:19], v[104:107]// 0000000044AC: D3F30068 1DA2257A
	buffer_load_dwordx4 a[76:79], v43, s[84:87], 0 offen offset:1024// 0000000044B4: E05C1400 80954C2B
	v_mfma_f32_16x16x32_fp8_fp8 v[104:107], a[124:125], a[20:21], v[104:107]// 0000000044BC: D3F30068 1DA2297C
	v_mfma_f32_16x16x32_fp8_fp8 v[104:107], a[126:127], a[22:23], v[104:107]// 0000000044C4: D3F30068 1DA22D7E
	v_mfma_f32_16x16x32_fp8_fp8 v[84:87], a[96:97], a[24:25], v[84:87]// 0000000044CC: D3F30054 1D523160
	v_mfma_f32_16x16x32_fp8_fp8 v[84:87], a[98:99], a[26:27], v[84:87]// 0000000044D4: D3F30054 1D523562
	buffer_load_dwordx4 a[80:83], v44, s[84:87], 0 offen       // 0000000044DC: E05C1000 8095502C
	v_mfma_f32_16x16x32_fp8_fp8 v[84:87], a[100:101], a[28:29], v[84:87]// 0000000044E4: D3F30054 1D523964
	v_mfma_f32_16x16x32_fp8_fp8 v[84:87], a[102:103], a[30:31], v[84:87]// 0000000044EC: D3F30054 1D523D66
	v_mfma_f32_16x16x32_fp8_fp8 v[92:95], a[104:105], a[24:25], v[92:95]// 0000000044F4: D3F3005C 1D723168
	v_mfma_f32_16x16x32_fp8_fp8 v[92:95], a[106:107], a[26:27], v[92:95]// 0000000044FC: D3F3005C 1D72356A
	buffer_load_dwordx4 a[84:87], v44, s[84:87], 0 offen offset:1024// 000000004504: E05C1400 8095542C
	v_mfma_f32_16x16x32_fp8_fp8 v[92:95], a[108:109], a[28:29], v[92:95]// 00000000450C: D3F3005C 1D72396C
	v_mfma_f32_16x16x32_fp8_fp8 v[92:95], a[110:111], a[30:31], v[92:95]// 000000004514: D3F3005C 1D723D6E
	v_mfma_f32_16x16x32_fp8_fp8 v[100:103], a[112:113], a[24:25], v[100:103]// 00000000451C: D3F30064 1D923170
	s_add_u32 s60, 0x180, s80                                  // 000000004524: 803C50FF 00000180
	s_cmp_lt_u32 s60, s81                                      // 00000000452C: BF0A513C
	s_cselect_b32 s57, s57, 0                                  // 000000004530: 85398039
	v_mfma_f32_16x16x32_fp8_fp8 v[100:103], a[114:115], a[26:27], v[100:103]// 000000004534: D3F30064 1D923572
	buffer_load_dwordx4 a[88:91], v45, s[84:87], 0 offen       // 00000000453C: E05C1000 8095582D
	s_add_u32 s60, 0x100, s80                                  // 000000004544: 803C50FF 00000100
	s_cmp_lt_u32 s60, s81                                      // 00000000454C: BF0A513C
	s_cselect_b32 s58, s58, 0                                  // 000000004550: 853A803A
	v_mfma_f32_16x16x32_fp8_fp8 v[100:103], a[116:117], a[28:29], v[100:103]// 000000004554: D3F30064 1D923974
	s_add_u32 s60, 0x100, s80                                  // 00000000455C: 803C50FF 00000100
	s_cmp_lt_u32 s60, s81                                      // 000000004564: BF0A513C
	s_cselect_b32 s83, s83, 0                                  // 000000004568: 85538053
	v_mfma_f32_16x16x32_fp8_fp8 v[100:103], a[118:119], a[30:31], v[100:103]// 00000000456C: D3F30064 1D923D76
	s_add_u32 s24, s58, s24                                    // 000000004574: 8018183A
	s_addc_u32 s25, 0, s25                                     // 000000004578: 82191980
	v_mfma_f32_16x16x32_fp8_fp8 v[108:111], a[120:121], a[24:25], v[108:111]// 00000000457C: D3F3006C 1DB23178
	s_add_u32 s20, s57, s20                                    // 000000004584: 80141439
	s_addc_u32 s21, 0, s21                                     // 000000004588: 82151580
	v_mfma_f32_16x16x32_fp8_fp8 v[108:111], a[122:123], a[26:27], v[108:111]// 00000000458C: D3F3006C 1DB2357A
	buffer_load_dwordx4 a[92:95], v45, s[84:87], 0 offen offset:1024// 000000004594: E05C1400 80955C2D
	s_add_u32 s84, s83, s84                                    // 00000000459C: 80545453
	s_addc_u32 s85, 0, s85                                     // 0000000045A0: 82555580
	v_mfma_f32_16x16x32_fp8_fp8 v[108:111], a[124:125], a[28:29], v[108:111]// 0000000045A4: D3F3006C 1DB2397C
	v_mfma_f32_16x16x32_fp8_fp8 v[108:111], a[126:127], a[30:31], v[108:111]// 0000000045AC: D3F3006C 1DB23D7E
	s_addk_i32 s80, 0x80                                       // 0000000045B4: B7500080
	s_cmp_lt_i32 s80, s81                                      // 0000000045B8: BF045150
	s_cbranch_scc0 label_06F1                                  // 0000000045BC: BF840001
	s_branch label_0216                                        // 0000000045C0: BF82FB25

00000000000045c4 <label_06F1>:
	v_mul_f32_dpp v48, v24, v48 row_newbcast:0 row_mask:0xf bank_mask:0xf// 0000000045C4: 0A6060FA FF015018
	v_mul_f32_dpp v49, v24, v49 row_newbcast:1 row_mask:0xf bank_mask:0xf// 0000000045CC: 0A6262FA FF015118
	v_mul_f32_dpp v50, v24, v50 row_newbcast:2 row_mask:0xf bank_mask:0xf// 0000000045D4: 0A6464FA FF015218
	v_mul_f32_dpp v51, v24, v51 row_newbcast:3 row_mask:0xf bank_mask:0xf// 0000000045DC: 0A6666FA FF015318
	v_mul_f32_dpp v52, v24, v52 row_newbcast:0 row_mask:0xf bank_mask:0xf// 0000000045E4: 0A6868FA FF015018
	v_mul_f32_dpp v53, v24, v53 row_newbcast:1 row_mask:0xf bank_mask:0xf// 0000000045EC: 0A6A6AFA FF015118
	v_mul_f32_dpp v54, v24, v54 row_newbcast:2 row_mask:0xf bank_mask:0xf// 0000000045F4: 0A6C6CFA FF015218
	v_mul_f32_dpp v55, v24, v55 row_newbcast:3 row_mask:0xf bank_mask:0xf// 0000000045FC: 0A6E6EFA FF015318
	v_mul_f32_dpp v56, v24, v56 row_newbcast:4 row_mask:0xf bank_mask:0xf// 000000004604: 0A7070FA FF015418
	v_mul_f32_dpp v57, v24, v57 row_newbcast:5 row_mask:0xf bank_mask:0xf// 00000000460C: 0A7272FA FF015518
	v_mul_f32_dpp v58, v24, v58 row_newbcast:6 row_mask:0xf bank_mask:0xf// 000000004614: 0A7474FA FF015618
	v_mul_f32_dpp v59, v24, v59 row_newbcast:7 row_mask:0xf bank_mask:0xf// 00000000461C: 0A7676FA FF015718
	v_mul_f32_dpp v60, v24, v60 row_newbcast:4 row_mask:0xf bank_mask:0xf// 000000004624: 0A7878FA FF015418
	v_mul_f32_dpp v61, v24, v61 row_newbcast:5 row_mask:0xf bank_mask:0xf// 00000000462C: 0A7A7AFA FF015518
	v_mul_f32_dpp v62, v24, v62 row_newbcast:6 row_mask:0xf bank_mask:0xf// 000000004634: 0A7C7CFA FF015618
	v_mul_f32_dpp v63, v24, v63 row_newbcast:7 row_mask:0xf bank_mask:0xf// 00000000463C: 0A7E7EFA FF015718
	v_mul_f32_dpp v64, v24, v64 row_newbcast:8 row_mask:0xf bank_mask:0xf// 000000004644: 0A8080FA FF015818
	v_mul_f32_dpp v65, v24, v65 row_newbcast:9 row_mask:0xf bank_mask:0xf// 00000000464C: 0A8282FA FF015918
	v_mul_f32_dpp v66, v24, v66 row_newbcast:10 row_mask:0xf bank_mask:0xf// 000000004654: 0A8484FA FF015A18
	v_mul_f32_dpp v67, v24, v67 row_newbcast:11 row_mask:0xf bank_mask:0xf// 00000000465C: 0A8686FA FF015B18
	v_mul_f32_dpp v68, v24, v68 row_newbcast:8 row_mask:0xf bank_mask:0xf// 000000004664: 0A8888FA FF015818
	v_mul_f32_dpp v69, v24, v69 row_newbcast:9 row_mask:0xf bank_mask:0xf// 00000000466C: 0A8A8AFA FF015918
	v_mul_f32_dpp v70, v24, v70 row_newbcast:10 row_mask:0xf bank_mask:0xf// 000000004674: 0A8C8CFA FF015A18
	v_mul_f32_dpp v71, v24, v71 row_newbcast:11 row_mask:0xf bank_mask:0xf// 00000000467C: 0A8E8EFA FF015B18
	v_mul_f32_dpp v72, v24, v72 row_newbcast:12 row_mask:0xf bank_mask:0xf// 000000004684: 0A9090FA FF015C18
	v_mul_f32_dpp v73, v24, v73 row_newbcast:13 row_mask:0xf bank_mask:0xf// 00000000468C: 0A9292FA FF015D18
	v_mul_f32_dpp v74, v24, v74 row_newbcast:14 row_mask:0xf bank_mask:0xf// 000000004694: 0A9494FA FF015E18
	v_mul_f32_dpp v75, v24, v75 row_newbcast:15 row_mask:0xf bank_mask:0xf// 00000000469C: 0A9696FA FF015F18
	v_mul_f32_dpp v76, v24, v76 row_newbcast:12 row_mask:0xf bank_mask:0xf// 0000000046A4: 0A9898FA FF015C18
	v_mul_f32_dpp v77, v24, v77 row_newbcast:13 row_mask:0xf bank_mask:0xf// 0000000046AC: 0A9A9AFA FF015D18
	v_mul_f32_dpp v78, v24, v78 row_newbcast:14 row_mask:0xf bank_mask:0xf// 0000000046B4: 0A9C9CFA FF015E18
	v_mul_f32_dpp v79, v24, v79 row_newbcast:15 row_mask:0xf bank_mask:0xf// 0000000046BC: 0A9E9EFA FF015F18
	v_mul_f32_dpp v80, v27, v80 row_newbcast:0 row_mask:0xf bank_mask:0xf// 0000000046C4: 0AA0A0FA FF01501B
	v_mul_f32_dpp v81, v27, v81 row_newbcast:1 row_mask:0xf bank_mask:0xf// 0000000046CC: 0AA2A2FA FF01511B
	v_mul_f32_dpp v82, v27, v82 row_newbcast:2 row_mask:0xf bank_mask:0xf// 0000000046D4: 0AA4A4FA FF01521B
	v_mul_f32_dpp v83, v27, v83 row_newbcast:3 row_mask:0xf bank_mask:0xf// 0000000046DC: 0AA6A6FA FF01531B
	v_mul_f32_dpp v84, v27, v84 row_newbcast:0 row_mask:0xf bank_mask:0xf// 0000000046E4: 0AA8A8FA FF01501B
	v_mul_f32_dpp v85, v27, v85 row_newbcast:1 row_mask:0xf bank_mask:0xf// 0000000046EC: 0AAAAAFA FF01511B
	v_mul_f32_dpp v86, v27, v86 row_newbcast:2 row_mask:0xf bank_mask:0xf// 0000000046F4: 0AACACFA FF01521B
	v_mul_f32_dpp v87, v27, v87 row_newbcast:3 row_mask:0xf bank_mask:0xf// 0000000046FC: 0AAEAEFA FF01531B
	v_mul_f32_dpp v88, v27, v88 row_newbcast:4 row_mask:0xf bank_mask:0xf// 000000004704: 0AB0B0FA FF01541B
	v_mul_f32_dpp v89, v27, v89 row_newbcast:5 row_mask:0xf bank_mask:0xf// 00000000470C: 0AB2B2FA FF01551B
	v_mul_f32_dpp v90, v27, v90 row_newbcast:6 row_mask:0xf bank_mask:0xf// 000000004714: 0AB4B4FA FF01561B
	v_mul_f32_dpp v91, v27, v91 row_newbcast:7 row_mask:0xf bank_mask:0xf// 00000000471C: 0AB6B6FA FF01571B
	v_mul_f32_dpp v92, v27, v92 row_newbcast:4 row_mask:0xf bank_mask:0xf// 000000004724: 0AB8B8FA FF01541B
	v_mul_f32_dpp v93, v27, v93 row_newbcast:5 row_mask:0xf bank_mask:0xf// 00000000472C: 0ABABAFA FF01551B
	v_mul_f32_dpp v94, v27, v94 row_newbcast:6 row_mask:0xf bank_mask:0xf// 000000004734: 0ABCBCFA FF01561B
	v_mul_f32_dpp v95, v27, v95 row_newbcast:7 row_mask:0xf bank_mask:0xf// 00000000473C: 0ABEBEFA FF01571B
	v_mul_f32_dpp v96, v27, v96 row_newbcast:8 row_mask:0xf bank_mask:0xf// 000000004744: 0AC0C0FA FF01581B
	v_mul_f32_dpp v97, v27, v97 row_newbcast:9 row_mask:0xf bank_mask:0xf// 00000000474C: 0AC2C2FA FF01591B
	v_mul_f32_dpp v98, v27, v98 row_newbcast:10 row_mask:0xf bank_mask:0xf// 000000004754: 0AC4C4FA FF015A1B
	v_mul_f32_dpp v99, v27, v99 row_newbcast:11 row_mask:0xf bank_mask:0xf// 00000000475C: 0AC6C6FA FF015B1B
	v_mul_f32_dpp v100, v27, v100 row_newbcast:8 row_mask:0xf bank_mask:0xf// 000000004764: 0AC8C8FA FF01581B
	v_mul_f32_dpp v101, v27, v101 row_newbcast:9 row_mask:0xf bank_mask:0xf// 00000000476C: 0ACACAFA FF01591B
	v_mul_f32_dpp v102, v27, v102 row_newbcast:10 row_mask:0xf bank_mask:0xf// 000000004774: 0ACCCCFA FF015A1B
	v_mul_f32_dpp v103, v27, v103 row_newbcast:11 row_mask:0xf bank_mask:0xf// 00000000477C: 0ACECEFA FF015B1B
	v_mul_f32_dpp v104, v27, v104 row_newbcast:12 row_mask:0xf bank_mask:0xf// 000000004784: 0AD0D0FA FF015C1B
	v_mul_f32_dpp v105, v27, v105 row_newbcast:13 row_mask:0xf bank_mask:0xf// 00000000478C: 0AD2D2FA FF015D1B
	v_mul_f32_dpp v106, v27, v106 row_newbcast:14 row_mask:0xf bank_mask:0xf// 000000004794: 0AD4D4FA FF015E1B
	v_mul_f32_dpp v107, v27, v107 row_newbcast:15 row_mask:0xf bank_mask:0xf// 00000000479C: 0AD6D6FA FF015F1B
	v_mul_f32_dpp v108, v27, v108 row_newbcast:12 row_mask:0xf bank_mask:0xf// 0000000047A4: 0AD8D8FA FF015C1B
	v_mul_f32_dpp v109, v27, v109 row_newbcast:13 row_mask:0xf bank_mask:0xf// 0000000047AC: 0ADADAFA FF015D1B
	v_mul_f32_dpp v110, v27, v110 row_newbcast:14 row_mask:0xf bank_mask:0xf// 0000000047B4: 0ADCDCFA FF015E1B
	v_mul_f32_dpp v111, v27, v111 row_newbcast:15 row_mask:0xf bank_mask:0xf// 0000000047BC: 0ADEDEFA FF015F1B
	v_mul_f32_e32 v32, v32, v112                               // 0000000047C4: 0A40E120
	v_mov_b32_e32 v4, v32                                      // 0000000047C8: 7E080320
	v_mov_b32_e32 v5, v4                                       // 0000000047CC: 7E0A0304
	v_pk_mul_f32 v[48:49], v[4:5], v[48:49]                    // 0000000047D0: D3B14030 18026104
	v_pk_mul_f32 v[80:81], v[4:5], v[80:81]                    // 0000000047D8: D3B14050 1802A104
	v_pk_mul_f32 v[50:51], v[4:5], v[50:51]                    // 0000000047E0: D3B14032 18026504
	v_pk_mul_f32 v[82:83], v[4:5], v[82:83]                    // 0000000047E8: D3B14052 1802A504
	v_pk_mul_f32 v[56:57], v[4:5], v[56:57]                    // 0000000047F0: D3B14038 18027104
	v_pk_mul_f32 v[88:89], v[4:5], v[88:89]                    // 0000000047F8: D3B14058 1802B104
	v_pk_mul_f32 v[58:59], v[4:5], v[58:59]                    // 000000004800: D3B1403A 18027504
	v_pk_mul_f32 v[90:91], v[4:5], v[90:91]                    // 000000004808: D3B1405A 1802B504
	v_pk_mul_f32 v[64:65], v[4:5], v[64:65]                    // 000000004810: D3B14040 18028104
	v_pk_mul_f32 v[96:97], v[4:5], v[96:97]                    // 000000004818: D3B14060 1802C104
	v_pk_mul_f32 v[66:67], v[4:5], v[66:67]                    // 000000004820: D3B14042 18028504
	v_pk_mul_f32 v[98:99], v[4:5], v[98:99]                    // 000000004828: D3B14062 1802C504
	v_pk_mul_f32 v[72:73], v[4:5], v[72:73]                    // 000000004830: D3B14048 18029104
	v_pk_mul_f32 v[104:105], v[4:5], v[104:105]                // 000000004838: D3B14068 1802D104
	v_pk_mul_f32 v[74:75], v[4:5], v[74:75]                    // 000000004840: D3B1404A 18029504
	v_pk_mul_f32 v[106:107], v[4:5], v[106:107]                // 000000004848: D3B1406A 1802D504
	v_mul_f32_e32 v33, v33, v113                               // 000000004850: 0A42E321
	v_mov_b32_e32 v4, v33                                      // 000000004854: 7E080321
	v_mov_b32_e32 v5, v4                                       // 000000004858: 7E0A0304
	v_pk_mul_f32 v[52:53], v[4:5], v[52:53]                    // 00000000485C: D3B14034 18026904
	v_pk_mul_f32 v[84:85], v[4:5], v[84:85]                    // 000000004864: D3B14054 1802A904
	v_pk_mul_f32 v[54:55], v[4:5], v[54:55]                    // 00000000486C: D3B14036 18026D04
	v_pk_mul_f32 v[86:87], v[4:5], v[86:87]                    // 000000004874: D3B14056 1802AD04
	v_pk_mul_f32 v[60:61], v[4:5], v[60:61]                    // 00000000487C: D3B1403C 18027904
	v_pk_mul_f32 v[92:93], v[4:5], v[92:93]                    // 000000004884: D3B1405C 1802B904
	v_pk_mul_f32 v[62:63], v[4:5], v[62:63]                    // 00000000488C: D3B1403E 18027D04
	v_pk_mul_f32 v[94:95], v[4:5], v[94:95]                    // 000000004894: D3B1405E 1802BD04
	v_pk_mul_f32 v[68:69], v[4:5], v[68:69]                    // 00000000489C: D3B14044 18028904
	v_pk_mul_f32 v[100:101], v[4:5], v[100:101]                // 0000000048A4: D3B14064 1802C904
	v_pk_mul_f32 v[70:71], v[4:5], v[70:71]                    // 0000000048AC: D3B14046 18028D04
	v_pk_mul_f32 v[102:103], v[4:5], v[102:103]                // 0000000048B4: D3B14066 1802CD04
	v_pk_mul_f32 v[76:77], v[4:5], v[76:77]                    // 0000000048BC: D3B1404C 18029904
	v_pk_mul_f32 v[108:109], v[4:5], v[108:109]                // 0000000048C4: D3B1406C 1802D904
	v_pk_mul_f32 v[78:79], v[4:5], v[78:79]                    // 0000000048CC: D3B1404E 18029D04
	v_pk_mul_f32 v[110:111], v[4:5], v[110:111]                // 0000000048D4: D3B1406E 1802DD04
	s_cmp_eq_u32 s88, 0                                        // 0000000048DC: BF068058
	s_cbranch_scc0 label_0BE2                                  // 0000000048E0: BF840429
	s_cmp_eq_u32 s89, 0                                        // 0000000048E4: BF068059
	s_cbranch_scc1 label_0900                                  // 0000000048E8: BF850145
	v_mov_b32_e32 v8, v1                                       // 0000000048EC: 7E100301
	v_mov_b32_e32 v9, v1                                       // 0000000048F0: 7E120301
	s_mov_b32 s60, s6                                          // 0000000048F4: BEBC0006
	s_mov_b32 s61, s6                                          // 0000000048F8: BEBD0006
	v_pk_mul_f32 v[4:5], v[48:49], v[48:49]                    // 0000000048FC: D3B14004 18026130
	v_pk_mul_f32 v[6:7], v[50:51], v[50:51]                    // 000000004904: D3B14006 18026532
	v_pk_fma_f32 v[4:5], v[4:5], s[78:79], v[8:9]              // 00000000490C: D3B04004 1C209D04
	v_pk_fma_f32 v[6:7], v[6:7], s[78:79], v[8:9]              // 000000004914: D3B04006 1C209D06
	v_pk_mul_f32 v[4:5], v[4:5], v[48:49]                      // 00000000491C: D3B14004 18026104
	v_pk_mul_f32 v[6:7], v[6:7], v[50:51]                      // 000000004924: D3B14006 18026506
	v_pk_mul_f32 v[4:5], v[4:5], s[60:61]                      // 00000000492C: D3B14004 18007904
	v_pk_mul_f32 v[6:7], v[6:7], s[60:61]                      // 000000004934: D3B14006 18007906
	v_exp_f32_e32 v4, v4                                       // 00000000493C: 7E084104
	v_exp_f32_e32 v5, v5                                       // 000000004940: 7E0A4105
	v_exp_f32_e32 v6, v6                                       // 000000004944: 7E0C4106
	v_exp_f32_e32 v7, v7                                       // 000000004948: 7E0E4107
	v_add_f32_e64 v4, v4, 1.0                                  // 00000000494C: D1010004 0001E504
	v_add_f32_e64 v5, v5, 1.0                                  // 000000004954: D1010005 0001E505
	v_add_f32_e64 v6, v6, 1.0                                  // 00000000495C: D1010006 0001E506
	v_add_f32_e64 v7, v7, 1.0                                  // 000000004964: D1010007 0001E507
	v_rcp_f32_e32 v4, v4                                       // 00000000496C: 7E084504
	v_rcp_f32_e32 v5, v5                                       // 000000004970: 7E0A4505
	v_rcp_f32_e32 v6, v6                                       // 000000004974: 7E0C4506
	v_rcp_f32_e32 v7, v7                                       // 000000004978: 7E0E4507
	v_mul_f32_e32 v48, v48, v4                                 // 00000000497C: 0A600930
	v_mul_f32_e32 v49, v49, v5                                 // 000000004980: 0A620B31
	v_mul_f32_e32 v50, v50, v6                                 // 000000004984: 0A640D32
	v_mul_f32_e32 v51, v51, v7                                 // 000000004988: 0A660F33
	v_mul_f32_e32 v48, v48, v80                                // 00000000498C: 0A60A130
	v_mul_f32_e32 v49, v49, v81                                // 000000004990: 0A62A331
	v_mul_f32_e32 v50, v50, v82                                // 000000004994: 0A64A532
	v_mul_f32_e32 v51, v51, v83                                // 000000004998: 0A66A733
	v_pk_mul_f32 v[4:5], v[52:53], v[52:53]                    // 00000000499C: D3B14004 18026934
	v_pk_mul_f32 v[6:7], v[54:55], v[54:55]                    // 0000000049A4: D3B14006 18026D36
	v_pk_fma_f32 v[4:5], v[4:5], s[78:79], v[8:9]              // 0000000049AC: D3B04004 1C209D04
	v_pk_fma_f32 v[6:7], v[6:7], s[78:79], v[8:9]              // 0000000049B4: D3B04006 1C209D06
	v_pk_mul_f32 v[4:5], v[4:5], v[52:53]                      // 0000000049BC: D3B14004 18026904
	v_pk_mul_f32 v[6:7], v[6:7], v[54:55]                      // 0000000049C4: D3B14006 18026D06
	v_pk_mul_f32 v[4:5], v[4:5], s[60:61]                      // 0000000049CC: D3B14004 18007904
	v_pk_mul_f32 v[6:7], v[6:7], s[60:61]                      // 0000000049D4: D3B14006 18007906
	v_exp_f32_e32 v4, v4                                       // 0000000049DC: 7E084104
	v_exp_f32_e32 v5, v5                                       // 0000000049E0: 7E0A4105
	v_exp_f32_e32 v6, v6                                       // 0000000049E4: 7E0C4106
	v_exp_f32_e32 v7, v7                                       // 0000000049E8: 7E0E4107
	v_add_f32_e64 v4, v4, 1.0                                  // 0000000049EC: D1010004 0001E504
	v_add_f32_e64 v5, v5, 1.0                                  // 0000000049F4: D1010005 0001E505
	v_add_f32_e64 v6, v6, 1.0                                  // 0000000049FC: D1010006 0001E506
	v_add_f32_e64 v7, v7, 1.0                                  // 000000004A04: D1010007 0001E507
	v_rcp_f32_e32 v4, v4                                       // 000000004A0C: 7E084504
	v_rcp_f32_e32 v5, v5                                       // 000000004A10: 7E0A4505
	v_rcp_f32_e32 v6, v6                                       // 000000004A14: 7E0C4506
	v_rcp_f32_e32 v7, v7                                       // 000000004A18: 7E0E4507
	v_mul_f32_e32 v52, v52, v4                                 // 000000004A1C: 0A680934
	v_mul_f32_e32 v53, v53, v5                                 // 000000004A20: 0A6A0B35
	v_mul_f32_e32 v54, v54, v6                                 // 000000004A24: 0A6C0D36
	v_mul_f32_e32 v55, v55, v7                                 // 000000004A28: 0A6E0F37
	v_mul_f32_e32 v52, v52, v84                                // 000000004A2C: 0A68A934
	v_mul_f32_e32 v53, v53, v85                                // 000000004A30: 0A6AAB35
	v_mul_f32_e32 v54, v54, v86                                // 000000004A34: 0A6CAD36
	v_mul_f32_e32 v55, v55, v87                                // 000000004A38: 0A6EAF37
	v_pk_mul_f32 v[4:5], v[56:57], v[56:57]                    // 000000004A3C: D3B14004 18027138
	v_pk_mul_f32 v[6:7], v[58:59], v[58:59]                    // 000000004A44: D3B14006 1802753A
	v_pk_fma_f32 v[4:5], v[4:5], s[78:79], v[8:9]              // 000000004A4C: D3B04004 1C209D04
	v_pk_fma_f32 v[6:7], v[6:7], s[78:79], v[8:9]              // 000000004A54: D3B04006 1C209D06
	v_pk_mul_f32 v[4:5], v[4:5], v[56:57]                      // 000000004A5C: D3B14004 18027104
	v_pk_mul_f32 v[6:7], v[6:7], v[58:59]                      // 000000004A64: D3B14006 18027506
	v_pk_mul_f32 v[4:5], v[4:5], s[60:61]                      // 000000004A6C: D3B14004 18007904
	v_pk_mul_f32 v[6:7], v[6:7], s[60:61]                      // 000000004A74: D3B14006 18007906
	v_exp_f32_e32 v4, v4                                       // 000000004A7C: 7E084104
	v_exp_f32_e32 v5, v5                                       // 000000004A80: 7E0A4105
	v_exp_f32_e32 v6, v6                                       // 000000004A84: 7E0C4106
	v_exp_f32_e32 v7, v7                                       // 000000004A88: 7E0E4107
	v_add_f32_e64 v4, v4, 1.0                                  // 000000004A8C: D1010004 0001E504
	v_add_f32_e64 v5, v5, 1.0                                  // 000000004A94: D1010005 0001E505
	v_add_f32_e64 v6, v6, 1.0                                  // 000000004A9C: D1010006 0001E506
	v_add_f32_e64 v7, v7, 1.0                                  // 000000004AA4: D1010007 0001E507
	v_rcp_f32_e32 v4, v4                                       // 000000004AAC: 7E084504
	v_rcp_f32_e32 v5, v5                                       // 000000004AB0: 7E0A4505
	v_rcp_f32_e32 v6, v6                                       // 000000004AB4: 7E0C4506
	v_rcp_f32_e32 v7, v7                                       // 000000004AB8: 7E0E4507
	v_mul_f32_e32 v56, v56, v4                                 // 000000004ABC: 0A700938
	v_mul_f32_e32 v57, v57, v5                                 // 000000004AC0: 0A720B39
	v_mul_f32_e32 v58, v58, v6                                 // 000000004AC4: 0A740D3A
	v_mul_f32_e32 v59, v59, v7                                 // 000000004AC8: 0A760F3B
	v_mul_f32_e32 v56, v56, v88                                // 000000004ACC: 0A70B138
	v_mul_f32_e32 v57, v57, v89                                // 000000004AD0: 0A72B339
	v_mul_f32_e32 v58, v58, v90                                // 000000004AD4: 0A74B53A
	v_mul_f32_e32 v59, v59, v91                                // 000000004AD8: 0A76B73B
	v_pk_mul_f32 v[4:5], v[60:61], v[60:61]                    // 000000004ADC: D3B14004 1802793C
	v_pk_mul_f32 v[6:7], v[62:63], v[62:63]                    // 000000004AE4: D3B14006 18027D3E
	v_pk_fma_f32 v[4:5], v[4:5], s[78:79], v[8:9]              // 000000004AEC: D3B04004 1C209D04
	v_pk_fma_f32 v[6:7], v[6:7], s[78:79], v[8:9]              // 000000004AF4: D3B04006 1C209D06
	v_pk_mul_f32 v[4:5], v[4:5], v[60:61]                      // 000000004AFC: D3B14004 18027904
	v_pk_mul_f32 v[6:7], v[6:7], v[62:63]                      // 000000004B04: D3B14006 18027D06
	v_pk_mul_f32 v[4:5], v[4:5], s[60:61]                      // 000000004B0C: D3B14004 18007904
	v_pk_mul_f32 v[6:7], v[6:7], s[60:61]                      // 000000004B14: D3B14006 18007906
	v_exp_f32_e32 v4, v4                                       // 000000004B1C: 7E084104
	v_exp_f32_e32 v5, v5                                       // 000000004B20: 7E0A4105
	v_exp_f32_e32 v6, v6                                       // 000000004B24: 7E0C4106
	v_exp_f32_e32 v7, v7                                       // 000000004B28: 7E0E4107
	v_add_f32_e64 v4, v4, 1.0                                  // 000000004B2C: D1010004 0001E504
	v_add_f32_e64 v5, v5, 1.0                                  // 000000004B34: D1010005 0001E505
	v_add_f32_e64 v6, v6, 1.0                                  // 000000004B3C: D1010006 0001E506
	v_add_f32_e64 v7, v7, 1.0                                  // 000000004B44: D1010007 0001E507
	v_rcp_f32_e32 v4, v4                                       // 000000004B4C: 7E084504
	v_rcp_f32_e32 v5, v5                                       // 000000004B50: 7E0A4505
	v_rcp_f32_e32 v6, v6                                       // 000000004B54: 7E0C4506
	v_rcp_f32_e32 v7, v7                                       // 000000004B58: 7E0E4507
	v_mul_f32_e32 v60, v60, v4                                 // 000000004B5C: 0A78093C
	v_mul_f32_e32 v61, v61, v5                                 // 000000004B60: 0A7A0B3D
	v_mul_f32_e32 v62, v62, v6                                 // 000000004B64: 0A7C0D3E
	v_mul_f32_e32 v63, v63, v7                                 // 000000004B68: 0A7E0F3F
	v_mul_f32_e32 v60, v60, v92                                // 000000004B6C: 0A78B93C
	v_mul_f32_e32 v61, v61, v93                                // 000000004B70: 0A7ABB3D
	v_mul_f32_e32 v62, v62, v94                                // 000000004B74: 0A7CBD3E
	v_mul_f32_e32 v63, v63, v95                                // 000000004B78: 0A7EBF3F
	v_pk_mul_f32 v[4:5], v[64:65], v[64:65]                    // 000000004B7C: D3B14004 18028140
	v_pk_mul_f32 v[6:7], v[66:67], v[66:67]                    // 000000004B84: D3B14006 18028542
	v_pk_fma_f32 v[4:5], v[4:5], s[78:79], v[8:9]              // 000000004B8C: D3B04004 1C209D04
	v_pk_fma_f32 v[6:7], v[6:7], s[78:79], v[8:9]              // 000000004B94: D3B04006 1C209D06
	v_pk_mul_f32 v[4:5], v[4:5], v[64:65]                      // 000000004B9C: D3B14004 18028104
	v_pk_mul_f32 v[6:7], v[6:7], v[66:67]                      // 000000004BA4: D3B14006 18028506
	v_pk_mul_f32 v[4:5], v[4:5], s[60:61]                      // 000000004BAC: D3B14004 18007904
	v_pk_mul_f32 v[6:7], v[6:7], s[60:61]                      // 000000004BB4: D3B14006 18007906
	v_exp_f32_e32 v4, v4                                       // 000000004BBC: 7E084104
	v_exp_f32_e32 v5, v5                                       // 000000004BC0: 7E0A4105
	v_exp_f32_e32 v6, v6                                       // 000000004BC4: 7E0C4106
	v_exp_f32_e32 v7, v7                                       // 000000004BC8: 7E0E4107
	v_add_f32_e64 v4, v4, 1.0                                  // 000000004BCC: D1010004 0001E504
	v_add_f32_e64 v5, v5, 1.0                                  // 000000004BD4: D1010005 0001E505
	v_add_f32_e64 v6, v6, 1.0                                  // 000000004BDC: D1010006 0001E506
	v_add_f32_e64 v7, v7, 1.0                                  // 000000004BE4: D1010007 0001E507
	v_rcp_f32_e32 v4, v4                                       // 000000004BEC: 7E084504
	v_rcp_f32_e32 v5, v5                                       // 000000004BF0: 7E0A4505
	v_rcp_f32_e32 v6, v6                                       // 000000004BF4: 7E0C4506
	v_rcp_f32_e32 v7, v7                                       // 000000004BF8: 7E0E4507
	v_mul_f32_e32 v64, v64, v4                                 // 000000004BFC: 0A800940
	v_mul_f32_e32 v65, v65, v5                                 // 000000004C00: 0A820B41
	v_mul_f32_e32 v66, v66, v6                                 // 000000004C04: 0A840D42
	v_mul_f32_e32 v67, v67, v7                                 // 000000004C08: 0A860F43
	v_mul_f32_e32 v64, v64, v96                                // 000000004C0C: 0A80C140
	v_mul_f32_e32 v65, v65, v97                                // 000000004C10: 0A82C341
	v_mul_f32_e32 v66, v66, v98                                // 000000004C14: 0A84C542
	v_mul_f32_e32 v67, v67, v99                                // 000000004C18: 0A86C743
	v_pk_mul_f32 v[4:5], v[68:69], v[68:69]                    // 000000004C1C: D3B14004 18028944
	v_pk_mul_f32 v[6:7], v[70:71], v[70:71]                    // 000000004C24: D3B14006 18028D46
	v_pk_fma_f32 v[4:5], v[4:5], s[78:79], v[8:9]              // 000000004C2C: D3B04004 1C209D04
	v_pk_fma_f32 v[6:7], v[6:7], s[78:79], v[8:9]              // 000000004C34: D3B04006 1C209D06
	v_pk_mul_f32 v[4:5], v[4:5], v[68:69]                      // 000000004C3C: D3B14004 18028904
	v_pk_mul_f32 v[6:7], v[6:7], v[70:71]                      // 000000004C44: D3B14006 18028D06
	v_pk_mul_f32 v[4:5], v[4:5], s[60:61]                      // 000000004C4C: D3B14004 18007904
	v_pk_mul_f32 v[6:7], v[6:7], s[60:61]                      // 000000004C54: D3B14006 18007906
	v_exp_f32_e32 v4, v4                                       // 000000004C5C: 7E084104
	v_exp_f32_e32 v5, v5                                       // 000000004C60: 7E0A4105
	v_exp_f32_e32 v6, v6                                       // 000000004C64: 7E0C4106
	v_exp_f32_e32 v7, v7                                       // 000000004C68: 7E0E4107
	v_add_f32_e64 v4, v4, 1.0                                  // 000000004C6C: D1010004 0001E504
	v_add_f32_e64 v5, v5, 1.0                                  // 000000004C74: D1010005 0001E505
	v_add_f32_e64 v6, v6, 1.0                                  // 000000004C7C: D1010006 0001E506
	v_add_f32_e64 v7, v7, 1.0                                  // 000000004C84: D1010007 0001E507
	v_rcp_f32_e32 v4, v4                                       // 000000004C8C: 7E084504
	v_rcp_f32_e32 v5, v5                                       // 000000004C90: 7E0A4505
	v_rcp_f32_e32 v6, v6                                       // 000000004C94: 7E0C4506
	v_rcp_f32_e32 v7, v7                                       // 000000004C98: 7E0E4507
	v_mul_f32_e32 v68, v68, v4                                 // 000000004C9C: 0A880944
	v_mul_f32_e32 v69, v69, v5                                 // 000000004CA0: 0A8A0B45
	v_mul_f32_e32 v70, v70, v6                                 // 000000004CA4: 0A8C0D46
	v_mul_f32_e32 v71, v71, v7                                 // 000000004CA8: 0A8E0F47
	v_mul_f32_e32 v68, v68, v100                               // 000000004CAC: 0A88C944
	v_mul_f32_e32 v69, v69, v101                               // 000000004CB0: 0A8ACB45
	v_mul_f32_e32 v70, v70, v102                               // 000000004CB4: 0A8CCD46
	v_mul_f32_e32 v71, v71, v103                               // 000000004CB8: 0A8ECF47
	v_pk_mul_f32 v[4:5], v[72:73], v[72:73]                    // 000000004CBC: D3B14004 18029148
	v_pk_mul_f32 v[6:7], v[74:75], v[74:75]                    // 000000004CC4: D3B14006 1802954A
	v_pk_fma_f32 v[4:5], v[4:5], s[78:79], v[8:9]              // 000000004CCC: D3B04004 1C209D04
	v_pk_fma_f32 v[6:7], v[6:7], s[78:79], v[8:9]              // 000000004CD4: D3B04006 1C209D06
	v_pk_mul_f32 v[4:5], v[4:5], v[72:73]                      // 000000004CDC: D3B14004 18029104
	v_pk_mul_f32 v[6:7], v[6:7], v[74:75]                      // 000000004CE4: D3B14006 18029506
	v_pk_mul_f32 v[4:5], v[4:5], s[60:61]                      // 000000004CEC: D3B14004 18007904
	v_pk_mul_f32 v[6:7], v[6:7], s[60:61]                      // 000000004CF4: D3B14006 18007906
	v_exp_f32_e32 v4, v4                                       // 000000004CFC: 7E084104
	v_exp_f32_e32 v5, v5                                       // 000000004D00: 7E0A4105
	v_exp_f32_e32 v6, v6                                       // 000000004D04: 7E0C4106
	v_exp_f32_e32 v7, v7                                       // 000000004D08: 7E0E4107
	v_add_f32_e64 v4, v4, 1.0                                  // 000000004D0C: D1010004 0001E504
	v_add_f32_e64 v5, v5, 1.0                                  // 000000004D14: D1010005 0001E505
	v_add_f32_e64 v6, v6, 1.0                                  // 000000004D1C: D1010006 0001E506
	v_add_f32_e64 v7, v7, 1.0                                  // 000000004D24: D1010007 0001E507
	v_rcp_f32_e32 v4, v4                                       // 000000004D2C: 7E084504
	v_rcp_f32_e32 v5, v5                                       // 000000004D30: 7E0A4505
	v_rcp_f32_e32 v6, v6                                       // 000000004D34: 7E0C4506
	v_rcp_f32_e32 v7, v7                                       // 000000004D38: 7E0E4507
	v_mul_f32_e32 v72, v72, v4                                 // 000000004D3C: 0A900948
	v_mul_f32_e32 v73, v73, v5                                 // 000000004D40: 0A920B49
	v_mul_f32_e32 v74, v74, v6                                 // 000000004D44: 0A940D4A
	v_mul_f32_e32 v75, v75, v7                                 // 000000004D48: 0A960F4B
	v_mul_f32_e32 v72, v72, v104                               // 000000004D4C: 0A90D148
	v_mul_f32_e32 v73, v73, v105                               // 000000004D50: 0A92D349
	v_mul_f32_e32 v74, v74, v106                               // 000000004D54: 0A94D54A
	v_mul_f32_e32 v75, v75, v107                               // 000000004D58: 0A96D74B
	v_pk_mul_f32 v[4:5], v[76:77], v[76:77]                    // 000000004D5C: D3B14004 1802994C
	v_pk_mul_f32 v[6:7], v[78:79], v[78:79]                    // 000000004D64: D3B14006 18029D4E
	v_pk_fma_f32 v[4:5], v[4:5], s[78:79], v[8:9]              // 000000004D6C: D3B04004 1C209D04
	v_pk_fma_f32 v[6:7], v[6:7], s[78:79], v[8:9]              // 000000004D74: D3B04006 1C209D06
	v_pk_mul_f32 v[4:5], v[4:5], v[76:77]                      // 000000004D7C: D3B14004 18029904
	v_pk_mul_f32 v[6:7], v[6:7], v[78:79]                      // 000000004D84: D3B14006 18029D06
	v_pk_mul_f32 v[4:5], v[4:5], s[60:61]                      // 000000004D8C: D3B14004 18007904
	v_pk_mul_f32 v[6:7], v[6:7], s[60:61]                      // 000000004D94: D3B14006 18007906
	v_exp_f32_e32 v4, v4                                       // 000000004D9C: 7E084104
	v_exp_f32_e32 v5, v5                                       // 000000004DA0: 7E0A4105
	v_exp_f32_e32 v6, v6                                       // 000000004DA4: 7E0C4106
	v_exp_f32_e32 v7, v7                                       // 000000004DA8: 7E0E4107
	v_add_f32_e64 v4, v4, 1.0                                  // 000000004DAC: D1010004 0001E504
	v_add_f32_e64 v5, v5, 1.0                                  // 000000004DB4: D1010005 0001E505
	v_add_f32_e64 v6, v6, 1.0                                  // 000000004DBC: D1010006 0001E506
	v_add_f32_e64 v7, v7, 1.0                                  // 000000004DC4: D1010007 0001E507
	v_rcp_f32_e32 v4, v4                                       // 000000004DCC: 7E084504
	v_rcp_f32_e32 v5, v5                                       // 000000004DD0: 7E0A4505
	v_rcp_f32_e32 v6, v6                                       // 000000004DD4: 7E0C4506
	v_rcp_f32_e32 v7, v7                                       // 000000004DD8: 7E0E4507
	v_mul_f32_e32 v76, v76, v4                                 // 000000004DDC: 0A98094C
	v_mul_f32_e32 v77, v77, v5                                 // 000000004DE0: 0A9A0B4D
	v_mul_f32_e32 v78, v78, v6                                 // 000000004DE4: 0A9C0D4E
	v_mul_f32_e32 v79, v79, v7                                 // 000000004DE8: 0A9E0F4F
	v_mul_f32_e32 v76, v76, v108                               // 000000004DEC: 0A98D94C
	v_mul_f32_e32 v77, v77, v109                               // 000000004DF0: 0A9ADB4D
	v_mul_f32_e32 v78, v78, v110                               // 000000004DF4: 0A9CDD4E
	v_mul_f32_e32 v79, v79, v111                               // 000000004DF8: 0A9EDF4F
	s_branch label_0A00                                        // 000000004DFC: BF820100

0000000000004e00 <label_0900>:
	v_mul_f32_e64 v4, -v48, s6                                 // 000000004E00: D1050004 20000D30
	v_mul_f32_e64 v5, -v49, s6                                 // 000000004E08: D1050005 20000D31
	v_mul_f32_e64 v6, -v50, s6                                 // 000000004E10: D1050006 20000D32
	v_mul_f32_e64 v7, -v51, s6                                 // 000000004E18: D1050007 20000D33
	v_exp_f32_e32 v4, v4                                       // 000000004E20: 7E084104
	v_exp_f32_e32 v5, v5                                       // 000000004E24: 7E0A4105
	v_exp_f32_e32 v6, v6                                       // 000000004E28: 7E0C4106
	v_exp_f32_e32 v7, v7                                       // 000000004E2C: 7E0E4107
	v_add_f32_e64 v4, v4, 1.0                                  // 000000004E30: D1010004 0001E504
	v_add_f32_e64 v5, v5, 1.0                                  // 000000004E38: D1010005 0001E505
	v_add_f32_e64 v6, v6, 1.0                                  // 000000004E40: D1010006 0001E506
	v_add_f32_e64 v7, v7, 1.0                                  // 000000004E48: D1010007 0001E507
	v_rcp_f32_e32 v4, v4                                       // 000000004E50: 7E084504
	v_rcp_f32_e32 v5, v5                                       // 000000004E54: 7E0A4505
	v_rcp_f32_e32 v6, v6                                       // 000000004E58: 7E0C4506
	v_rcp_f32_e32 v7, v7                                       // 000000004E5C: 7E0E4507
	v_mul_f32_e32 v48, v48, v4                                 // 000000004E60: 0A600930
	v_mul_f32_e32 v49, v49, v5                                 // 000000004E64: 0A620B31
	v_mul_f32_e32 v50, v50, v6                                 // 000000004E68: 0A640D32
	v_mul_f32_e32 v51, v51, v7                                 // 000000004E6C: 0A660F33
	v_mul_f32_e32 v48, v48, v80                                // 000000004E70: 0A60A130
	v_mul_f32_e32 v49, v49, v81                                // 000000004E74: 0A62A331
	v_mul_f32_e32 v50, v50, v82                                // 000000004E78: 0A64A532
	v_mul_f32_e32 v51, v51, v83                                // 000000004E7C: 0A66A733
	v_mul_f32_e64 v4, -v52, s6                                 // 000000004E80: D1050004 20000D34
	v_mul_f32_e64 v5, -v53, s6                                 // 000000004E88: D1050005 20000D35
	v_mul_f32_e64 v6, -v54, s6                                 // 000000004E90: D1050006 20000D36
	v_mul_f32_e64 v7, -v55, s6                                 // 000000004E98: D1050007 20000D37
	v_exp_f32_e32 v4, v4                                       // 000000004EA0: 7E084104
	v_exp_f32_e32 v5, v5                                       // 000000004EA4: 7E0A4105
	v_exp_f32_e32 v6, v6                                       // 000000004EA8: 7E0C4106
	v_exp_f32_e32 v7, v7                                       // 000000004EAC: 7E0E4107
	v_add_f32_e64 v4, v4, 1.0                                  // 000000004EB0: D1010004 0001E504
	v_add_f32_e64 v5, v5, 1.0                                  // 000000004EB8: D1010005 0001E505
	v_add_f32_e64 v6, v6, 1.0                                  // 000000004EC0: D1010006 0001E506
	v_add_f32_e64 v7, v7, 1.0                                  // 000000004EC8: D1010007 0001E507
	v_rcp_f32_e32 v4, v4                                       // 000000004ED0: 7E084504
	v_rcp_f32_e32 v5, v5                                       // 000000004ED4: 7E0A4505
	v_rcp_f32_e32 v6, v6                                       // 000000004ED8: 7E0C4506
	v_rcp_f32_e32 v7, v7                                       // 000000004EDC: 7E0E4507
	v_mul_f32_e32 v52, v52, v4                                 // 000000004EE0: 0A680934
	v_mul_f32_e32 v53, v53, v5                                 // 000000004EE4: 0A6A0B35
	v_mul_f32_e32 v54, v54, v6                                 // 000000004EE8: 0A6C0D36
	v_mul_f32_e32 v55, v55, v7                                 // 000000004EEC: 0A6E0F37
	v_mul_f32_e32 v52, v52, v84                                // 000000004EF0: 0A68A934
	v_mul_f32_e32 v53, v53, v85                                // 000000004EF4: 0A6AAB35
	v_mul_f32_e32 v54, v54, v86                                // 000000004EF8: 0A6CAD36
	v_mul_f32_e32 v55, v55, v87                                // 000000004EFC: 0A6EAF37
	v_mul_f32_e64 v4, -v56, s6                                 // 000000004F00: D1050004 20000D38
	v_mul_f32_e64 v5, -v57, s6                                 // 000000004F08: D1050005 20000D39
	v_mul_f32_e64 v6, -v58, s6                                 // 000000004F10: D1050006 20000D3A
	v_mul_f32_e64 v7, -v59, s6                                 // 000000004F18: D1050007 20000D3B
	v_exp_f32_e32 v4, v4                                       // 000000004F20: 7E084104
	v_exp_f32_e32 v5, v5                                       // 000000004F24: 7E0A4105
	v_exp_f32_e32 v6, v6                                       // 000000004F28: 7E0C4106
	v_exp_f32_e32 v7, v7                                       // 000000004F2C: 7E0E4107
	v_add_f32_e64 v4, v4, 1.0                                  // 000000004F30: D1010004 0001E504
	v_add_f32_e64 v5, v5, 1.0                                  // 000000004F38: D1010005 0001E505
	v_add_f32_e64 v6, v6, 1.0                                  // 000000004F40: D1010006 0001E506
	v_add_f32_e64 v7, v7, 1.0                                  // 000000004F48: D1010007 0001E507
	v_rcp_f32_e32 v4, v4                                       // 000000004F50: 7E084504
	v_rcp_f32_e32 v5, v5                                       // 000000004F54: 7E0A4505
	v_rcp_f32_e32 v6, v6                                       // 000000004F58: 7E0C4506
	v_rcp_f32_e32 v7, v7                                       // 000000004F5C: 7E0E4507
	v_mul_f32_e32 v56, v56, v4                                 // 000000004F60: 0A700938
	v_mul_f32_e32 v57, v57, v5                                 // 000000004F64: 0A720B39
	v_mul_f32_e32 v58, v58, v6                                 // 000000004F68: 0A740D3A
	v_mul_f32_e32 v59, v59, v7                                 // 000000004F6C: 0A760F3B
	v_mul_f32_e32 v56, v56, v88                                // 000000004F70: 0A70B138
	v_mul_f32_e32 v57, v57, v89                                // 000000004F74: 0A72B339
	v_mul_f32_e32 v58, v58, v90                                // 000000004F78: 0A74B53A
	v_mul_f32_e32 v59, v59, v91                                // 000000004F7C: 0A76B73B
	v_mul_f32_e64 v4, -v60, s6                                 // 000000004F80: D1050004 20000D3C
	v_mul_f32_e64 v5, -v61, s6                                 // 000000004F88: D1050005 20000D3D
	v_mul_f32_e64 v6, -v62, s6                                 // 000000004F90: D1050006 20000D3E
	v_mul_f32_e64 v7, -v63, s6                                 // 000000004F98: D1050007 20000D3F
	v_exp_f32_e32 v4, v4                                       // 000000004FA0: 7E084104
	v_exp_f32_e32 v5, v5                                       // 000000004FA4: 7E0A4105
	v_exp_f32_e32 v6, v6                                       // 000000004FA8: 7E0C4106
	v_exp_f32_e32 v7, v7                                       // 000000004FAC: 7E0E4107
	v_add_f32_e64 v4, v4, 1.0                                  // 000000004FB0: D1010004 0001E504
	v_add_f32_e64 v5, v5, 1.0                                  // 000000004FB8: D1010005 0001E505
	v_add_f32_e64 v6, v6, 1.0                                  // 000000004FC0: D1010006 0001E506
	v_add_f32_e64 v7, v7, 1.0                                  // 000000004FC8: D1010007 0001E507
	v_rcp_f32_e32 v4, v4                                       // 000000004FD0: 7E084504
	v_rcp_f32_e32 v5, v5                                       // 000000004FD4: 7E0A4505
	v_rcp_f32_e32 v6, v6                                       // 000000004FD8: 7E0C4506
	v_rcp_f32_e32 v7, v7                                       // 000000004FDC: 7E0E4507
	v_mul_f32_e32 v60, v60, v4                                 // 000000004FE0: 0A78093C
	v_mul_f32_e32 v61, v61, v5                                 // 000000004FE4: 0A7A0B3D
	v_mul_f32_e32 v62, v62, v6                                 // 000000004FE8: 0A7C0D3E
	v_mul_f32_e32 v63, v63, v7                                 // 000000004FEC: 0A7E0F3F
	v_mul_f32_e32 v60, v60, v92                                // 000000004FF0: 0A78B93C
	v_mul_f32_e32 v61, v61, v93                                // 000000004FF4: 0A7ABB3D
	v_mul_f32_e32 v62, v62, v94                                // 000000004FF8: 0A7CBD3E
	v_mul_f32_e32 v63, v63, v95                                // 000000004FFC: 0A7EBF3F
	v_mul_f32_e64 v4, -v64, s6                                 // 000000005000: D1050004 20000D40
	v_mul_f32_e64 v5, -v65, s6                                 // 000000005008: D1050005 20000D41
	v_mul_f32_e64 v6, -v66, s6                                 // 000000005010: D1050006 20000D42
	v_mul_f32_e64 v7, -v67, s6                                 // 000000005018: D1050007 20000D43
	v_exp_f32_e32 v4, v4                                       // 000000005020: 7E084104
	v_exp_f32_e32 v5, v5                                       // 000000005024: 7E0A4105
	v_exp_f32_e32 v6, v6                                       // 000000005028: 7E0C4106
	v_exp_f32_e32 v7, v7                                       // 00000000502C: 7E0E4107
	v_add_f32_e64 v4, v4, 1.0                                  // 000000005030: D1010004 0001E504
	v_add_f32_e64 v5, v5, 1.0                                  // 000000005038: D1010005 0001E505
	v_add_f32_e64 v6, v6, 1.0                                  // 000000005040: D1010006 0001E506
	v_add_f32_e64 v7, v7, 1.0                                  // 000000005048: D1010007 0001E507
	v_rcp_f32_e32 v4, v4                                       // 000000005050: 7E084504
	v_rcp_f32_e32 v5, v5                                       // 000000005054: 7E0A4505
	v_rcp_f32_e32 v6, v6                                       // 000000005058: 7E0C4506
	v_rcp_f32_e32 v7, v7                                       // 00000000505C: 7E0E4507
	v_mul_f32_e32 v64, v64, v4                                 // 000000005060: 0A800940
	v_mul_f32_e32 v65, v65, v5                                 // 000000005064: 0A820B41
	v_mul_f32_e32 v66, v66, v6                                 // 000000005068: 0A840D42
	v_mul_f32_e32 v67, v67, v7                                 // 00000000506C: 0A860F43
	v_mul_f32_e32 v64, v64, v96                                // 000000005070: 0A80C140
	v_mul_f32_e32 v65, v65, v97                                // 000000005074: 0A82C341
	v_mul_f32_e32 v66, v66, v98                                // 000000005078: 0A84C542
	v_mul_f32_e32 v67, v67, v99                                // 00000000507C: 0A86C743
	v_mul_f32_e64 v4, -v68, s6                                 // 000000005080: D1050004 20000D44
	v_mul_f32_e64 v5, -v69, s6                                 // 000000005088: D1050005 20000D45
	v_mul_f32_e64 v6, -v70, s6                                 // 000000005090: D1050006 20000D46
	v_mul_f32_e64 v7, -v71, s6                                 // 000000005098: D1050007 20000D47
	v_exp_f32_e32 v4, v4                                       // 0000000050A0: 7E084104
	v_exp_f32_e32 v5, v5                                       // 0000000050A4: 7E0A4105
	v_exp_f32_e32 v6, v6                                       // 0000000050A8: 7E0C4106
	v_exp_f32_e32 v7, v7                                       // 0000000050AC: 7E0E4107
	v_add_f32_e64 v4, v4, 1.0                                  // 0000000050B0: D1010004 0001E504
	v_add_f32_e64 v5, v5, 1.0                                  // 0000000050B8: D1010005 0001E505
	v_add_f32_e64 v6, v6, 1.0                                  // 0000000050C0: D1010006 0001E506
	v_add_f32_e64 v7, v7, 1.0                                  // 0000000050C8: D1010007 0001E507
	v_rcp_f32_e32 v4, v4                                       // 0000000050D0: 7E084504
	v_rcp_f32_e32 v5, v5                                       // 0000000050D4: 7E0A4505
	v_rcp_f32_e32 v6, v6                                       // 0000000050D8: 7E0C4506
	v_rcp_f32_e32 v7, v7                                       // 0000000050DC: 7E0E4507
	v_mul_f32_e32 v68, v68, v4                                 // 0000000050E0: 0A880944
	v_mul_f32_e32 v69, v69, v5                                 // 0000000050E4: 0A8A0B45
	v_mul_f32_e32 v70, v70, v6                                 // 0000000050E8: 0A8C0D46
	v_mul_f32_e32 v71, v71, v7                                 // 0000000050EC: 0A8E0F47
	v_mul_f32_e32 v68, v68, v100                               // 0000000050F0: 0A88C944
	v_mul_f32_e32 v69, v69, v101                               // 0000000050F4: 0A8ACB45
	v_mul_f32_e32 v70, v70, v102                               // 0000000050F8: 0A8CCD46
	v_mul_f32_e32 v71, v71, v103                               // 0000000050FC: 0A8ECF47
	v_mul_f32_e64 v4, -v72, s6                                 // 000000005100: D1050004 20000D48
	v_mul_f32_e64 v5, -v73, s6                                 // 000000005108: D1050005 20000D49
	v_mul_f32_e64 v6, -v74, s6                                 // 000000005110: D1050006 20000D4A
	v_mul_f32_e64 v7, -v75, s6                                 // 000000005118: D1050007 20000D4B
	v_exp_f32_e32 v4, v4                                       // 000000005120: 7E084104
	v_exp_f32_e32 v5, v5                                       // 000000005124: 7E0A4105
	v_exp_f32_e32 v6, v6                                       // 000000005128: 7E0C4106
	v_exp_f32_e32 v7, v7                                       // 00000000512C: 7E0E4107
	v_add_f32_e64 v4, v4, 1.0                                  // 000000005130: D1010004 0001E504
	v_add_f32_e64 v5, v5, 1.0                                  // 000000005138: D1010005 0001E505
	v_add_f32_e64 v6, v6, 1.0                                  // 000000005140: D1010006 0001E506
	v_add_f32_e64 v7, v7, 1.0                                  // 000000005148: D1010007 0001E507
	v_rcp_f32_e32 v4, v4                                       // 000000005150: 7E084504
	v_rcp_f32_e32 v5, v5                                       // 000000005154: 7E0A4505
	v_rcp_f32_e32 v6, v6                                       // 000000005158: 7E0C4506
	v_rcp_f32_e32 v7, v7                                       // 00000000515C: 7E0E4507
	v_mul_f32_e32 v72, v72, v4                                 // 000000005160: 0A900948
	v_mul_f32_e32 v73, v73, v5                                 // 000000005164: 0A920B49
	v_mul_f32_e32 v74, v74, v6                                 // 000000005168: 0A940D4A
	v_mul_f32_e32 v75, v75, v7                                 // 00000000516C: 0A960F4B
	v_mul_f32_e32 v72, v72, v104                               // 000000005170: 0A90D148
	v_mul_f32_e32 v73, v73, v105                               // 000000005174: 0A92D349
	v_mul_f32_e32 v74, v74, v106                               // 000000005178: 0A94D54A
	v_mul_f32_e32 v75, v75, v107                               // 00000000517C: 0A96D74B
	v_mul_f32_e64 v4, -v76, s6                                 // 000000005180: D1050004 20000D4C
	v_mul_f32_e64 v5, -v77, s6                                 // 000000005188: D1050005 20000D4D
	v_mul_f32_e64 v6, -v78, s6                                 // 000000005190: D1050006 20000D4E
	v_mul_f32_e64 v7, -v79, s6                                 // 000000005198: D1050007 20000D4F
	v_exp_f32_e32 v4, v4                                       // 0000000051A0: 7E084104
	v_exp_f32_e32 v5, v5                                       // 0000000051A4: 7E0A4105
	v_exp_f32_e32 v6, v6                                       // 0000000051A8: 7E0C4106
	v_exp_f32_e32 v7, v7                                       // 0000000051AC: 7E0E4107
	v_add_f32_e64 v4, v4, 1.0                                  // 0000000051B0: D1010004 0001E504
	v_add_f32_e64 v5, v5, 1.0                                  // 0000000051B8: D1010005 0001E505
	v_add_f32_e64 v6, v6, 1.0                                  // 0000000051C0: D1010006 0001E506
	v_add_f32_e64 v7, v7, 1.0                                  // 0000000051C8: D1010007 0001E507
	v_rcp_f32_e32 v4, v4                                       // 0000000051D0: 7E084504
	v_rcp_f32_e32 v5, v5                                       // 0000000051D4: 7E0A4505
	v_rcp_f32_e32 v6, v6                                       // 0000000051D8: 7E0C4506
	v_rcp_f32_e32 v7, v7                                       // 0000000051DC: 7E0E4507
	v_mul_f32_e32 v76, v76, v4                                 // 0000000051E0: 0A98094C
	v_mul_f32_e32 v77, v77, v5                                 // 0000000051E4: 0A9A0B4D
	v_mul_f32_e32 v78, v78, v6                                 // 0000000051E8: 0A9C0D4E
	v_mul_f32_e32 v79, v79, v7                                 // 0000000051EC: 0A9E0F4F
	v_mul_f32_e32 v76, v76, v108                               // 0000000051F0: 0A98D94C
	v_mul_f32_e32 v77, v77, v109                               // 0000000051F4: 0A9ADB4D
	v_mul_f32_e32 v78, v78, v110                               // 0000000051F8: 0A9CDD4E
	v_mul_f32_e32 v79, v79, v111                               // 0000000051FC: 0A9EDF4F

0000000000005200 <label_0A00>:
	v_cmp_u_f32_e64 s[46:47], v48, v48                         // 000000005200: D048002E 00026130
	v_add3_u32 v16, v48, v19, 1                                // 000000005208: D1FF0010 02062730
	v_cndmask_b32_e64 v4, v16, v18, s[46:47]                   // 000000005210: D1000004 00BA2510
	v_cmp_u_f32_e64 s[46:47], v49, v49                         // 000000005218: D048002E 00026331
	v_add3_u32 v16, v49, v19, 1                                // 000000005220: D1FF0010 02062731
	v_cndmask_b32_e64 v5, v16, v18, s[46:47]                   // 000000005228: D1000005 00BA2510
	v_perm_b32 v48, v5, v4, s52                                // 000000005230: D1ED0030 00D20905
	v_cmp_u_f32_e64 s[46:47], v50, v50                         // 000000005238: D048002E 00026532
	v_add3_u32 v16, v50, v19, 1                                // 000000005240: D1FF0010 02062732
	v_cndmask_b32_e64 v4, v16, v18, s[46:47]                   // 000000005248: D1000004 00BA2510
	v_cmp_u_f32_e64 s[46:47], v51, v51                         // 000000005250: D048002E 00026733
	v_add3_u32 v16, v51, v19, 1                                // 000000005258: D1FF0010 02062733
	v_cndmask_b32_e64 v5, v16, v18, s[46:47]                   // 000000005260: D1000005 00BA2510
	v_perm_b32 v49, v5, v4, s52                                // 000000005268: D1ED0031 00D20905
	v_cmp_u_f32_e64 s[46:47], v52, v52                         // 000000005270: D048002E 00026934
	v_add3_u32 v16, v52, v19, 1                                // 000000005278: D1FF0010 02062734
	v_cndmask_b32_e64 v4, v16, v18, s[46:47]                   // 000000005280: D1000004 00BA2510
	v_cmp_u_f32_e64 s[46:47], v53, v53                         // 000000005288: D048002E 00026B35
	v_add3_u32 v16, v53, v19, 1                                // 000000005290: D1FF0010 02062735
	v_cndmask_b32_e64 v5, v16, v18, s[46:47]                   // 000000005298: D1000005 00BA2510
	v_perm_b32 v50, v5, v4, s52                                // 0000000052A0: D1ED0032 00D20905
	v_cmp_u_f32_e64 s[46:47], v54, v54                         // 0000000052A8: D048002E 00026D36
	v_add3_u32 v16, v54, v19, 1                                // 0000000052B0: D1FF0010 02062736
	v_cndmask_b32_e64 v4, v16, v18, s[46:47]                   // 0000000052B8: D1000004 00BA2510
	v_cmp_u_f32_e64 s[46:47], v55, v55                         // 0000000052C0: D048002E 00026F37
	v_add3_u32 v16, v55, v19, 1                                // 0000000052C8: D1FF0010 02062737
	v_cndmask_b32_e64 v5, v16, v18, s[46:47]                   // 0000000052D0: D1000005 00BA2510
	v_perm_b32 v51, v5, v4, s52                                // 0000000052D8: D1ED0033 00D20905
	v_cmp_u_f32_e64 s[46:47], v56, v56                         // 0000000052E0: D048002E 00027138
	v_add3_u32 v16, v56, v19, 1                                // 0000000052E8: D1FF0010 02062738
	v_cndmask_b32_e64 v4, v16, v18, s[46:47]                   // 0000000052F0: D1000004 00BA2510
	v_cmp_u_f32_e64 s[46:47], v57, v57                         // 0000000052F8: D048002E 00027339
	v_add3_u32 v16, v57, v19, 1                                // 000000005300: D1FF0010 02062739
	v_cndmask_b32_e64 v5, v16, v18, s[46:47]                   // 000000005308: D1000005 00BA2510
	v_perm_b32 v52, v5, v4, s52                                // 000000005310: D1ED0034 00D20905
	v_cmp_u_f32_e64 s[46:47], v58, v58                         // 000000005318: D048002E 0002753A
	v_add3_u32 v16, v58, v19, 1                                // 000000005320: D1FF0010 0206273A
	v_cndmask_b32_e64 v4, v16, v18, s[46:47]                   // 000000005328: D1000004 00BA2510
	v_cmp_u_f32_e64 s[46:47], v59, v59                         // 000000005330: D048002E 0002773B
	v_add3_u32 v16, v59, v19, 1                                // 000000005338: D1FF0010 0206273B
	v_cndmask_b32_e64 v5, v16, v18, s[46:47]                   // 000000005340: D1000005 00BA2510
	v_perm_b32 v53, v5, v4, s52                                // 000000005348: D1ED0035 00D20905
	v_cmp_u_f32_e64 s[46:47], v60, v60                         // 000000005350: D048002E 0002793C
	v_add3_u32 v16, v60, v19, 1                                // 000000005358: D1FF0010 0206273C
	v_cndmask_b32_e64 v4, v16, v18, s[46:47]                   // 000000005360: D1000004 00BA2510
	v_cmp_u_f32_e64 s[46:47], v61, v61                         // 000000005368: D048002E 00027B3D
	v_add3_u32 v16, v61, v19, 1                                // 000000005370: D1FF0010 0206273D
	v_cndmask_b32_e64 v5, v16, v18, s[46:47]                   // 000000005378: D1000005 00BA2510
	v_perm_b32 v54, v5, v4, s52                                // 000000005380: D1ED0036 00D20905
	v_cmp_u_f32_e64 s[46:47], v62, v62                         // 000000005388: D048002E 00027D3E
	v_add3_u32 v16, v62, v19, 1                                // 000000005390: D1FF0010 0206273E
	v_cndmask_b32_e64 v4, v16, v18, s[46:47]                   // 000000005398: D1000004 00BA2510
	v_cmp_u_f32_e64 s[46:47], v63, v63                         // 0000000053A0: D048002E 00027F3F
	v_add3_u32 v16, v63, v19, 1                                // 0000000053A8: D1FF0010 0206273F
	v_cndmask_b32_e64 v5, v16, v18, s[46:47]                   // 0000000053B0: D1000005 00BA2510
	v_perm_b32 v55, v5, v4, s52                                // 0000000053B8: D1ED0037 00D20905
	v_cmp_u_f32_e64 s[46:47], v64, v64                         // 0000000053C0: D048002E 00028140
	v_add3_u32 v16, v64, v19, 1                                // 0000000053C8: D1FF0010 02062740
	v_cndmask_b32_e64 v4, v16, v18, s[46:47]                   // 0000000053D0: D1000004 00BA2510
	v_cmp_u_f32_e64 s[46:47], v65, v65                         // 0000000053D8: D048002E 00028341
	v_add3_u32 v16, v65, v19, 1                                // 0000000053E0: D1FF0010 02062741
	v_cndmask_b32_e64 v5, v16, v18, s[46:47]                   // 0000000053E8: D1000005 00BA2510
	v_perm_b32 v56, v5, v4, s52                                // 0000000053F0: D1ED0038 00D20905
	v_cmp_u_f32_e64 s[46:47], v66, v66                         // 0000000053F8: D048002E 00028542
	v_add3_u32 v16, v66, v19, 1                                // 000000005400: D1FF0010 02062742
	v_cndmask_b32_e64 v4, v16, v18, s[46:47]                   // 000000005408: D1000004 00BA2510
	v_cmp_u_f32_e64 s[46:47], v67, v67                         // 000000005410: D048002E 00028743
	v_add3_u32 v16, v67, v19, 1                                // 000000005418: D1FF0010 02062743
	v_cndmask_b32_e64 v5, v16, v18, s[46:47]                   // 000000005420: D1000005 00BA2510
	v_perm_b32 v57, v5, v4, s52                                // 000000005428: D1ED0039 00D20905
	v_cmp_u_f32_e64 s[46:47], v68, v68                         // 000000005430: D048002E 00028944
	v_add3_u32 v16, v68, v19, 1                                // 000000005438: D1FF0010 02062744
	v_cndmask_b32_e64 v4, v16, v18, s[46:47]                   // 000000005440: D1000004 00BA2510
	v_cmp_u_f32_e64 s[46:47], v69, v69                         // 000000005448: D048002E 00028B45
	v_add3_u32 v16, v69, v19, 1                                // 000000005450: D1FF0010 02062745
	v_cndmask_b32_e64 v5, v16, v18, s[46:47]                   // 000000005458: D1000005 00BA2510
	v_perm_b32 v58, v5, v4, s52                                // 000000005460: D1ED003A 00D20905
	v_cmp_u_f32_e64 s[46:47], v70, v70                         // 000000005468: D048002E 00028D46
	v_add3_u32 v16, v70, v19, 1                                // 000000005470: D1FF0010 02062746
	v_cndmask_b32_e64 v4, v16, v18, s[46:47]                   // 000000005478: D1000004 00BA2510
	v_cmp_u_f32_e64 s[46:47], v71, v71                         // 000000005480: D048002E 00028F47
	v_add3_u32 v16, v71, v19, 1                                // 000000005488: D1FF0010 02062747
	v_cndmask_b32_e64 v5, v16, v18, s[46:47]                   // 000000005490: D1000005 00BA2510
	v_perm_b32 v59, v5, v4, s52                                // 000000005498: D1ED003B 00D20905
	v_cmp_u_f32_e64 s[46:47], v72, v72                         // 0000000054A0: D048002E 00029148
	v_add3_u32 v16, v72, v19, 1                                // 0000000054A8: D1FF0010 02062748
	v_cndmask_b32_e64 v4, v16, v18, s[46:47]                   // 0000000054B0: D1000004 00BA2510
	v_cmp_u_f32_e64 s[46:47], v73, v73                         // 0000000054B8: D048002E 00029349
	v_add3_u32 v16, v73, v19, 1                                // 0000000054C0: D1FF0010 02062749
	v_cndmask_b32_e64 v5, v16, v18, s[46:47]                   // 0000000054C8: D1000005 00BA2510
	v_perm_b32 v60, v5, v4, s52                                // 0000000054D0: D1ED003C 00D20905
	v_cmp_u_f32_e64 s[46:47], v74, v74                         // 0000000054D8: D048002E 0002954A
	v_add3_u32 v16, v74, v19, 1                                // 0000000054E0: D1FF0010 0206274A
	v_cndmask_b32_e64 v4, v16, v18, s[46:47]                   // 0000000054E8: D1000004 00BA2510
	v_cmp_u_f32_e64 s[46:47], v75, v75                         // 0000000054F0: D048002E 0002974B
	v_add3_u32 v16, v75, v19, 1                                // 0000000054F8: D1FF0010 0206274B
	v_cndmask_b32_e64 v5, v16, v18, s[46:47]                   // 000000005500: D1000005 00BA2510
	v_perm_b32 v61, v5, v4, s52                                // 000000005508: D1ED003D 00D20905
	v_cmp_u_f32_e64 s[46:47], v76, v76                         // 000000005510: D048002E 0002994C
	v_add3_u32 v16, v76, v19, 1                                // 000000005518: D1FF0010 0206274C
	v_cndmask_b32_e64 v4, v16, v18, s[46:47]                   // 000000005520: D1000004 00BA2510
	v_cmp_u_f32_e64 s[46:47], v77, v77                         // 000000005528: D048002E 00029B4D
	v_add3_u32 v16, v77, v19, 1                                // 000000005530: D1FF0010 0206274D
	v_cndmask_b32_e64 v5, v16, v18, s[46:47]                   // 000000005538: D1000005 00BA2510
	v_perm_b32 v62, v5, v4, s52                                // 000000005540: D1ED003E 00D20905
	v_cmp_u_f32_e64 s[46:47], v78, v78                         // 000000005548: D048002E 00029D4E
	v_add3_u32 v16, v78, v19, 1                                // 000000005550: D1FF0010 0206274E
	v_cndmask_b32_e64 v4, v16, v18, s[46:47]                   // 000000005558: D1000004 00BA2510
	v_cmp_u_f32_e64 s[46:47], v79, v79                         // 000000005560: D048002E 00029F4F
	v_add3_u32 v16, v79, v19, 1                                // 000000005568: D1FF0010 0206274F
	v_cndmask_b32_e64 v5, v16, v18, s[46:47]                   // 000000005570: D1000005 00BA2510
	v_perm_b32 v63, v5, v4, s52                                // 000000005578: D1ED003F 00D20905
	ds_write_b64 v20, v[48:49]                                 // 000000005580: D89A0000 00003014
	ds_write_b64 v20, v[50:51] offset:8704                     // 000000005588: D89A2200 00003214
	ds_write_b64 v20, v[52:53] offset:2176                     // 000000005590: D89A0880 00003414
	ds_write_b64 v20, v[54:55] offset:10880                    // 000000005598: D89A2A80 00003614
	ds_write_b64 v20, v[56:57] offset:4352                     // 0000000055A0: D89A1100 00003814
	ds_write_b64 v20, v[58:59] offset:13056                    // 0000000055A8: D89A3300 00003A14
	ds_write_b64 v20, v[60:61] offset:6528                     // 0000000055B0: D89A1980 00003C14
	ds_write_b64 v20, v[62:63] offset:15232                    // 0000000055B8: D89A3B80 00003E14
	v_lshrrev_b32_e32 v4, 5, v0                                // 0000000055C0: 20080085
	v_xor_b32_e32 v5, 1, v4                                    // 0000000055C4: 2A0A0881
	s_mul_i32 s60, s65, 2                                      // 0000000055C8: 923C8241
	s_cmp_eq_u32 s88, 0                                        // 0000000055CC: BF068058
	s_cselect_b32 s61, 1, 4                                    // 0000000055D0: 853D8481
	s_mul_i32 s60, s61, s60                                    // 0000000055D4: 923C3C3D
	v_readlane_b32 s82, v3, 0                                  // 0000000055D8: D2890052 00010103
	s_lshr_b32 s61, s82, 24                                    // 0000000055E0: 8F3D9852
	s_and_b32 s82, s82, 0xffffff                               // 0000000055E4: 8652FF52 00FFFFFF
	s_mul_i32 s82, s82, s71                                    // 0000000055EC: 92524752
	s_mul_i32 s61, s60, s61                                    // 0000000055F0: 923D3D3C
	s_add_u32 s82, s82, s61                                    // 0000000055F4: 80523D52
	v_mul_lo_u32 v6, v5, s82                                   // 0000000055F8: D2850006 0000A505
	v_readlane_b32 s82, v3, 1                                  // 000000005600: D2890052 00010303
	s_lshr_b32 s61, s82, 24                                    // 000000005608: 8F3D9852
	s_and_b32 s82, s82, 0xffffff                               // 00000000560C: 8652FF52 00FFFFFF
	s_mul_i32 s82, s82, s71                                    // 000000005614: 92524752
	s_mul_i32 s61, s60, s61                                    // 000000005618: 923D3D3C
	s_add_u32 s82, s82, s61                                    // 00000000561C: 80523D52
	v_mul_lo_u32 v7, v4, s82                                   // 000000005620: D2850007 0000A504
	v_add_u32_e32 v38, v6, v7                                  // 000000005628: 684C0F06
	v_readlane_b32 s82, v3, 2                                  // 00000000562C: D2890052 00010503
	s_lshr_b32 s61, s82, 24                                    // 000000005634: 8F3D9852
	s_and_b32 s82, s82, 0xffffff                               // 000000005638: 8652FF52 00FFFFFF
	s_mul_i32 s82, s82, s71                                    // 000000005640: 92524752
	s_mul_i32 s61, s60, s61                                    // 000000005644: 923D3D3C
	s_add_u32 s82, s82, s61                                    // 000000005648: 80523D52
	v_mul_lo_u32 v6, v5, s82                                   // 00000000564C: D2850006 0000A505
	v_readlane_b32 s82, v3, 3                                  // 000000005654: D2890052 00010703
	s_lshr_b32 s61, s82, 24                                    // 00000000565C: 8F3D9852
	s_and_b32 s82, s82, 0xffffff                               // 000000005660: 8652FF52 00FFFFFF
	s_mul_i32 s82, s82, s71                                    // 000000005668: 92524752
	s_mul_i32 s61, s60, s61                                    // 00000000566C: 923D3D3C
	s_add_u32 s82, s82, s61                                    // 000000005670: 80523D52
	v_mul_lo_u32 v7, v4, s82                                   // 000000005674: D2850007 0000A504
	v_add_u32_e32 v39, v6, v7                                  // 00000000567C: 684E0F06
	v_readlane_b32 s82, v3, 4                                  // 000000005680: D2890052 00010903
	s_lshr_b32 s61, s82, 24                                    // 000000005688: 8F3D9852
	s_and_b32 s82, s82, 0xffffff                               // 00000000568C: 8652FF52 00FFFFFF
	s_mul_i32 s82, s82, s71                                    // 000000005694: 92524752
	s_mul_i32 s61, s60, s61                                    // 000000005698: 923D3D3C
	s_add_u32 s82, s82, s61                                    // 00000000569C: 80523D52
	v_mul_lo_u32 v6, v5, s82                                   // 0000000056A0: D2850006 0000A505
	v_readlane_b32 s82, v3, 5                                  // 0000000056A8: D2890052 00010B03
	s_lshr_b32 s61, s82, 24                                    // 0000000056B0: 8F3D9852
	s_and_b32 s82, s82, 0xffffff                               // 0000000056B4: 8652FF52 00FFFFFF
	s_mul_i32 s82, s82, s71                                    // 0000000056BC: 92524752
	s_mul_i32 s61, s60, s61                                    // 0000000056C0: 923D3D3C
	s_add_u32 s82, s82, s61                                    // 0000000056C4: 80523D52
	v_mul_lo_u32 v7, v4, s82                                   // 0000000056C8: D2850007 0000A504
	v_add_u32_e32 v40, v6, v7                                  // 0000000056D0: 68500F06
	v_readlane_b32 s82, v3, 6                                  // 0000000056D4: D2890052 00010D03
	s_lshr_b32 s61, s82, 24                                    // 0000000056DC: 8F3D9852
	s_and_b32 s82, s82, 0xffffff                               // 0000000056E0: 8652FF52 00FFFFFF
	s_mul_i32 s82, s82, s71                                    // 0000000056E8: 92524752
	s_mul_i32 s61, s60, s61                                    // 0000000056EC: 923D3D3C
	s_add_u32 s82, s82, s61                                    // 0000000056F0: 80523D52
	v_mul_lo_u32 v6, v5, s82                                   // 0000000056F4: D2850006 0000A505
	v_readlane_b32 s82, v3, 7                                  // 0000000056FC: D2890052 00010F03
	s_lshr_b32 s61, s82, 24                                    // 000000005704: 8F3D9852
	s_and_b32 s82, s82, 0xffffff                               // 000000005708: 8652FF52 00FFFFFF
	s_mul_i32 s82, s82, s71                                    // 000000005710: 92524752
	s_mul_i32 s61, s60, s61                                    // 000000005714: 923D3D3C
	s_add_u32 s82, s82, s61                                    // 000000005718: 80523D52
	v_mul_lo_u32 v7, v4, s82                                   // 00000000571C: D2850007 0000A504
	v_add_u32_e32 v41, v6, v7                                  // 000000005724: 68520F06
	v_and_b32_e32 v4, 31, v0                                   // 000000005728: 2608009F
	v_lshrrev_b32_e32 v4, 1, v4                                // 00000000572C: 20080881
	s_cmp_eq_u32 s88, 0                                        // 000000005730: BF068058
	s_cselect_b32 s61, 2, 4                                    // 000000005734: 853D8482
	v_mul_lo_u32 v4, v4, s61                                   // 000000005738: D2850004 00007B04
	v_and_b32_e64 v5, v0, 1                                    // 000000005740: D1130005 00010300
	v_add_u32_e32 v4, v4, v5                                   // 000000005748: 68080B04
	v_lshlrev_b32_e32 v4, 2, v4                                // 00000000574C: 24080882
	v_add_u32_e32 v38, v38, v4                                 // 000000005750: 684C0926
	v_add_u32_e32 v39, v39, v4                                 // 000000005754: 684E0927
	v_add_u32_e32 v40, v40, v4                                 // 000000005758: 68500928
	v_add_u32_e32 v41, v41, v4                                 // 00000000575C: 68520929
	s_waitcnt lgkmcnt(0)                                       // 000000005760: BF8CC07F
	s_barrier                                                  // 000000005764: BF8A0000
	ds_read_b32 v48, v21                                       // 000000005768: D86C0000 30000015
	ds_read_b32 v49, v21 offset:64                             // 000000005770: D86C0040 31000015
	ds_read_b32 v50, v21 offset:2176                           // 000000005778: D86C0880 32000015
	ds_read_b32 v51, v21 offset:2240                           // 000000005780: D86C08C0 33000015
	ds_read_b32 v52, v21 offset:4352                           // 000000005788: D86C1100 34000015
	ds_read_b32 v53, v21 offset:4416                           // 000000005790: D86C1140 35000015
	ds_read_b32 v54, v21 offset:6528                           // 000000005798: D86C1980 36000015
	ds_read_b32 v55, v21 offset:6592                           // 0000000057A0: D86C19C0 37000015
	ds_read_b32 v56, v21 offset:8704                           // 0000000057A8: D86C2200 38000015
	ds_read_b32 v57, v21 offset:8768                           // 0000000057B0: D86C2240 39000015
	ds_read_b32 v58, v21 offset:10880                          // 0000000057B8: D86C2A80 3A000015
	ds_read_b32 v59, v21 offset:10944                          // 0000000057C0: D86C2AC0 3B000015
	ds_read_b32 v60, v21 offset:13056                          // 0000000057C8: D86C3300 3C000015
	ds_read_b32 v61, v21 offset:13120                          // 0000000057D0: D86C3340 3D000015
	ds_read_b32 v62, v21 offset:15232                          // 0000000057D8: D86C3B80 3E000015
	ds_read_b32 v63, v21 offset:15296                          // 0000000057E0: D86C3BC0 3F000015
	s_waitcnt lgkmcnt(0)                                       // 0000000057E8: BF8CC07F
	s_mov_b32 s36, -1                                          // 0000000057EC: BEA400C1
	s_mov_b32 s37, -1                                          // 0000000057F0: BEA500C1
	v_mov_b32_e32 v7, 0                                        // 0000000057F4: 7E0E0280
	s_or_b32 s9, s9, 0x40000                                   // 0000000057F8: 8709FF09 00040000
	s_mov_b64 exec, s[36:37]                                   // 000000005800: BEFE0124
	v_mov_b32_e32 v6, v38                                      // 000000005804: 7E0C0326
	s_mov_b64 s[60:61], 0                                      // 000000005808: BEBC0180
	v_readlane_b32 s82, v3, 0                                  // 00000000580C: D2890052 00010103
	s_and_b32 s82, s82, 0xffffff                               // 000000005814: 8652FF52 00FFFFFF
	s_cmp_lt_u32 s82, s66                                      // 00000000581C: BF0A4252
	s_cselect_b32 s20, s36, s60                                // 000000005820: 85143C24
	v_readlane_b32 s82, v3, 1                                  // 000000005824: D2890052 00010303
	s_and_b32 s82, s82, 0xffffff                               // 00000000582C: 8652FF52 00FFFFFF
	s_cmp_lt_u32 s82, s66                                      // 000000005834: BF0A4252
	s_cselect_b32 s21, s36, s60                                // 000000005838: 85153C24
	s_mov_b64 exec, s[20:21]                                   // 00000000583C: BEFE0114
	buffer_store_dword v48, v6, s[8:11], 0 offen               // 000000005840: E0701000 80023006
	buffer_store_dword v50, v6, s[8:11], 0 offen offset:128    // 000000005848: E0701080 80023206
	buffer_store_dword v52, v6, s[8:11], 0 offen offset:256    // 000000005850: E0701100 80023406
	buffer_store_dword v54, v6, s[8:11], 0 offen offset:384    // 000000005858: E0701180 80023606
	s_mov_b64 exec, s[36:37]                                   // 000000005860: BEFE0124
	v_mov_b32_e32 v6, v39                                      // 000000005864: 7E0C0327
	s_mov_b64 s[60:61], 0                                      // 000000005868: BEBC0180
	v_readlane_b32 s82, v3, 2                                  // 00000000586C: D2890052 00010503
	s_and_b32 s82, s82, 0xffffff                               // 000000005874: 8652FF52 00FFFFFF
	s_cmp_lt_u32 s82, s66                                      // 00000000587C: BF0A4252
	s_cselect_b32 s20, s36, s60                                // 000000005880: 85143C24
	v_readlane_b32 s82, v3, 3                                  // 000000005884: D2890052 00010703
	s_and_b32 s82, s82, 0xffffff                               // 00000000588C: 8652FF52 00FFFFFF
	s_cmp_lt_u32 s82, s66                                      // 000000005894: BF0A4252
	s_cselect_b32 s21, s36, s60                                // 000000005898: 85153C24
	s_mov_b64 exec, s[20:21]                                   // 00000000589C: BEFE0114
	buffer_store_dword v49, v6, s[8:11], 0 offen               // 0000000058A0: E0701000 80023106
	buffer_store_dword v51, v6, s[8:11], 0 offen offset:128    // 0000000058A8: E0701080 80023306
	buffer_store_dword v53, v6, s[8:11], 0 offen offset:256    // 0000000058B0: E0701100 80023506
	buffer_store_dword v55, v6, s[8:11], 0 offen offset:384    // 0000000058B8: E0701180 80023706
	s_mov_b64 exec, s[36:37]                                   // 0000000058C0: BEFE0124
	v_mov_b32_e32 v6, v40                                      // 0000000058C4: 7E0C0328
	s_mov_b64 s[60:61], 0                                      // 0000000058C8: BEBC0180
	v_readlane_b32 s82, v3, 4                                  // 0000000058CC: D2890052 00010903
	s_and_b32 s82, s82, 0xffffff                               // 0000000058D4: 8652FF52 00FFFFFF
	s_cmp_lt_u32 s82, s66                                      // 0000000058DC: BF0A4252
	s_cselect_b32 s20, s36, s60                                // 0000000058E0: 85143C24
	v_readlane_b32 s82, v3, 5                                  // 0000000058E4: D2890052 00010B03
	s_and_b32 s82, s82, 0xffffff                               // 0000000058EC: 8652FF52 00FFFFFF
	s_cmp_lt_u32 s82, s66                                      // 0000000058F4: BF0A4252
	s_cselect_b32 s21, s36, s60                                // 0000000058F8: 85153C24
	s_mov_b64 exec, s[20:21]                                   // 0000000058FC: BEFE0114
	buffer_store_dword v56, v6, s[8:11], 0 offen               // 000000005900: E0701000 80023806
	buffer_store_dword v58, v6, s[8:11], 0 offen offset:128    // 000000005908: E0701080 80023A06
	buffer_store_dword v60, v6, s[8:11], 0 offen offset:256    // 000000005910: E0701100 80023C06
	buffer_store_dword v62, v6, s[8:11], 0 offen offset:384    // 000000005918: E0701180 80023E06
	s_mov_b64 exec, s[36:37]                                   // 000000005920: BEFE0124
	v_mov_b32_e32 v6, v41                                      // 000000005924: 7E0C0329
	s_mov_b64 s[60:61], 0                                      // 000000005928: BEBC0180
	v_readlane_b32 s82, v3, 6                                  // 00000000592C: D2890052 00010D03
	s_and_b32 s82, s82, 0xffffff                               // 000000005934: 8652FF52 00FFFFFF
	s_cmp_lt_u32 s82, s66                                      // 00000000593C: BF0A4252
	s_cselect_b32 s20, s36, s60                                // 000000005940: 85143C24
	v_readlane_b32 s82, v3, 7                                  // 000000005944: D2890052 00010F03
	s_and_b32 s82, s82, 0xffffff                               // 00000000594C: 8652FF52 00FFFFFF
	s_cmp_lt_u32 s82, s66                                      // 000000005954: BF0A4252
	s_cselect_b32 s21, s36, s60                                // 000000005958: 85153C24
	s_mov_b64 exec, s[20:21]                                   // 00000000595C: BEFE0114
	buffer_store_dword v57, v6, s[8:11], 0 offen               // 000000005960: E0701000 80023906
	buffer_store_dword v59, v6, s[8:11], 0 offen offset:128    // 000000005968: E0701080 80023B06
	buffer_store_dword v61, v6, s[8:11], 0 offen offset:256    // 000000005970: E0701100 80023D06
	buffer_store_dword v63, v6, s[8:11], 0 offen offset:384    // 000000005978: E0701180 80023F06
	s_mov_b64 exec, s[36:37]                                   // 000000005980: BEFE0124
	s_branch label_1B35                                        // 000000005984: BF820F50

0000000000005988 <label_0BE2>:
	ds_write_b64 v20, v[48:49]                                 // 000000005988: D89A0000 00003014
	ds_write_b64 v20, v[52:53] offset:8704                     // 000000005990: D89A2200 00003414
	ds_write_b64 v20, v[56:57] offset:2176                     // 000000005998: D89A0880 00003814
	ds_write_b64 v20, v[60:61] offset:10880                    // 0000000059A0: D89A2A80 00003C14
	ds_write_b64 v20, v[64:65] offset:4352                     // 0000000059A8: D89A1100 00004014
	ds_write_b64 v20, v[68:69] offset:13056                    // 0000000059B0: D89A3300 00004414
	ds_write_b64 v20, v[72:73] offset:6528                     // 0000000059B8: D89A1980 00004814
	ds_write_b64 v20, v[76:77] offset:15232                    // 0000000059C0: D89A3B80 00004C14
	v_lshrrev_b32_e32 v4, 5, v0                                // 0000000059C8: 20080085
	v_xor_b32_e32 v5, 1, v4                                    // 0000000059CC: 2A0A0881
	s_mul_i32 s60, s65, 2                                      // 0000000059D0: 923C8241
	s_cmp_eq_u32 s88, 0                                        // 0000000059D4: BF068058
	s_cselect_b32 s61, 1, 4                                    // 0000000059D8: 853D8481
	s_mul_i32 s60, s61, s60                                    // 0000000059DC: 923C3C3D
	v_readlane_b32 s82, v3, 0                                  // 0000000059E0: D2890052 00010103
	s_lshr_b32 s61, s82, 24                                    // 0000000059E8: 8F3D9852
	s_and_b32 s82, s82, 0xffffff                               // 0000000059EC: 8652FF52 00FFFFFF
	s_mul_i32 s82, s82, s71                                    // 0000000059F4: 92524752
	s_mul_i32 s61, s60, s61                                    // 0000000059F8: 923D3D3C
	s_add_u32 s82, s82, s61                                    // 0000000059FC: 80523D52
	v_mul_lo_u32 v6, v5, s82                                   // 000000005A00: D2850006 0000A505
	v_readlane_b32 s82, v3, 1                                  // 000000005A08: D2890052 00010303
	s_lshr_b32 s61, s82, 24                                    // 000000005A10: 8F3D9852
	s_and_b32 s82, s82, 0xffffff                               // 000000005A14: 8652FF52 00FFFFFF
	s_mul_i32 s82, s82, s71                                    // 000000005A1C: 92524752
	s_mul_i32 s61, s60, s61                                    // 000000005A20: 923D3D3C
	s_add_u32 s82, s82, s61                                    // 000000005A24: 80523D52
	v_mul_lo_u32 v7, v4, s82                                   // 000000005A28: D2850007 0000A504
	v_add_u32_e32 v38, v6, v7                                  // 000000005A30: 684C0F06
	v_readlane_b32 s82, v3, 2                                  // 000000005A34: D2890052 00010503
	s_lshr_b32 s61, s82, 24                                    // 000000005A3C: 8F3D9852
	s_and_b32 s82, s82, 0xffffff                               // 000000005A40: 8652FF52 00FFFFFF
	s_mul_i32 s82, s82, s71                                    // 000000005A48: 92524752
	s_mul_i32 s61, s60, s61                                    // 000000005A4C: 923D3D3C
	s_add_u32 s82, s82, s61                                    // 000000005A50: 80523D52
	v_mul_lo_u32 v6, v5, s82                                   // 000000005A54: D2850006 0000A505
	v_readlane_b32 s82, v3, 3                                  // 000000005A5C: D2890052 00010703
	s_lshr_b32 s61, s82, 24                                    // 000000005A64: 8F3D9852
	s_and_b32 s82, s82, 0xffffff                               // 000000005A68: 8652FF52 00FFFFFF
	s_mul_i32 s82, s82, s71                                    // 000000005A70: 92524752
	s_mul_i32 s61, s60, s61                                    // 000000005A74: 923D3D3C
	s_add_u32 s82, s82, s61                                    // 000000005A78: 80523D52
	v_mul_lo_u32 v7, v4, s82                                   // 000000005A7C: D2850007 0000A504
	v_add_u32_e32 v39, v6, v7                                  // 000000005A84: 684E0F06
	v_readlane_b32 s82, v3, 4                                  // 000000005A88: D2890052 00010903
	s_lshr_b32 s61, s82, 24                                    // 000000005A90: 8F3D9852
	s_and_b32 s82, s82, 0xffffff                               // 000000005A94: 8652FF52 00FFFFFF
	s_mul_i32 s82, s82, s71                                    // 000000005A9C: 92524752
	s_mul_i32 s61, s60, s61                                    // 000000005AA0: 923D3D3C
	s_add_u32 s82, s82, s61                                    // 000000005AA4: 80523D52
	v_mul_lo_u32 v6, v5, s82                                   // 000000005AA8: D2850006 0000A505
	v_readlane_b32 s82, v3, 5                                  // 000000005AB0: D2890052 00010B03
	s_lshr_b32 s61, s82, 24                                    // 000000005AB8: 8F3D9852
	s_and_b32 s82, s82, 0xffffff                               // 000000005ABC: 8652FF52 00FFFFFF
	s_mul_i32 s82, s82, s71                                    // 000000005AC4: 92524752
	s_mul_i32 s61, s60, s61                                    // 000000005AC8: 923D3D3C
	s_add_u32 s82, s82, s61                                    // 000000005ACC: 80523D52
	v_mul_lo_u32 v7, v4, s82                                   // 000000005AD0: D2850007 0000A504
	v_add_u32_e32 v40, v6, v7                                  // 000000005AD8: 68500F06
	v_readlane_b32 s82, v3, 6                                  // 000000005ADC: D2890052 00010D03
	s_lshr_b32 s61, s82, 24                                    // 000000005AE4: 8F3D9852
	s_and_b32 s82, s82, 0xffffff                               // 000000005AE8: 8652FF52 00FFFFFF
	s_mul_i32 s82, s82, s71                                    // 000000005AF0: 92524752
	s_mul_i32 s61, s60, s61                                    // 000000005AF4: 923D3D3C
	s_add_u32 s82, s82, s61                                    // 000000005AF8: 80523D52
	v_mul_lo_u32 v6, v5, s82                                   // 000000005AFC: D2850006 0000A505
	v_readlane_b32 s82, v3, 7                                  // 000000005B04: D2890052 00010F03
	s_lshr_b32 s61, s82, 24                                    // 000000005B0C: 8F3D9852
	s_and_b32 s82, s82, 0xffffff                               // 000000005B10: 8652FF52 00FFFFFF
	s_mul_i32 s82, s82, s71                                    // 000000005B18: 92524752
	s_mul_i32 s61, s60, s61                                    // 000000005B1C: 923D3D3C
	s_add_u32 s82, s82, s61                                    // 000000005B20: 80523D52
	v_mul_lo_u32 v7, v4, s82                                   // 000000005B24: D2850007 0000A504
	v_add_u32_e32 v41, v6, v7                                  // 000000005B2C: 68520F06
	v_and_b32_e32 v4, 31, v0                                   // 000000005B30: 2608009F
	v_lshrrev_b32_e32 v4, 1, v4                                // 000000005B34: 20080881
	s_cmp_eq_u32 s88, 0                                        // 000000005B38: BF068058
	s_cselect_b32 s61, 2, 4                                    // 000000005B3C: 853D8482
	v_mul_lo_u32 v4, v4, s61                                   // 000000005B40: D2850004 00007B04
	v_and_b32_e64 v5, v0, 1                                    // 000000005B48: D1130005 00010300
	v_add_u32_e32 v4, v4, v5                                   // 000000005B50: 68080B04
	v_lshlrev_b32_e32 v4, 2, v4                                // 000000005B54: 24080882
	v_add_u32_e32 v38, v38, v4                                 // 000000005B58: 684C0926
	v_add_u32_e32 v39, v39, v4                                 // 000000005B5C: 684E0927
	v_add_u32_e32 v40, v40, v4                                 // 000000005B60: 68500928
	v_add_u32_e32 v41, v41, v4                                 // 000000005B64: 68520929
	s_waitcnt lgkmcnt(0)                                       // 000000005B68: BF8CC07F
	s_barrier                                                  // 000000005B6C: BF8A0000
	ds_read_b32 v48, v21                                       // 000000005B70: D86C0000 30000015
	ds_read_b32 v49, v21 offset:64                             // 000000005B78: D86C0040 31000015
	ds_read_b32 v52, v21 offset:2176                           // 000000005B80: D86C0880 34000015
	ds_read_b32 v53, v21 offset:2240                           // 000000005B88: D86C08C0 35000015
	ds_read_b32 v56, v21 offset:4352                           // 000000005B90: D86C1100 38000015
	ds_read_b32 v57, v21 offset:4416                           // 000000005B98: D86C1140 39000015
	ds_read_b32 v60, v21 offset:6528                           // 000000005BA0: D86C1980 3C000015
	ds_read_b32 v61, v21 offset:6592                           // 000000005BA8: D86C19C0 3D000015
	ds_read_b32 v64, v21 offset:8704                           // 000000005BB0: D86C2200 40000015
	ds_read_b32 v65, v21 offset:8768                           // 000000005BB8: D86C2240 41000015
	ds_read_b32 v68, v21 offset:10880                          // 000000005BC0: D86C2A80 44000015
	ds_read_b32 v69, v21 offset:10944                          // 000000005BC8: D86C2AC0 45000015
	ds_read_b32 v72, v21 offset:13056                          // 000000005BD0: D86C3300 48000015
	ds_read_b32 v73, v21 offset:13120                          // 000000005BD8: D86C3340 49000015
	ds_read_b32 v76, v21 offset:15232                          // 000000005BE0: D86C3B80 4C000015
	ds_read_b32 v77, v21 offset:15296                          // 000000005BE8: D86C3BC0 4D000015
	s_waitcnt lgkmcnt(0)                                       // 000000005BF0: BF8CC07F
	s_mov_b32 s36, -1                                          // 000000005BF4: BEA400C1
	s_mov_b32 s37, -1                                          // 000000005BF8: BEA500C1
	v_mov_b32_e32 v7, 0                                        // 000000005BFC: 7E0E0280
	s_mov_b64 exec, s[36:37]                                   // 000000005C00: BEFE0124
	v_mov_b32_e32 v6, v38                                      // 000000005C04: 7E0C0326
	s_mov_b64 s[60:61], 0                                      // 000000005C08: BEBC0180
	v_readlane_b32 s82, v3, 0                                  // 000000005C0C: D2890052 00010103
	s_and_b32 s82, s82, 0xffffff                               // 000000005C14: 8652FF52 00FFFFFF
	s_cmp_lt_u32 s82, s66                                      // 000000005C1C: BF0A4252
	s_cselect_b32 s20, s36, s60                                // 000000005C20: 85143C24
	v_readlane_b32 s82, v3, 1                                  // 000000005C24: D2890052 00010303
	s_and_b32 s82, s82, 0xffffff                               // 000000005C2C: 8652FF52 00FFFFFF
	s_cmp_lt_u32 s82, s66                                      // 000000005C34: BF0A4252
	s_cselect_b32 s21, s36, s60                                // 000000005C38: 85153C24
	s_mov_b64 exec, s[20:21]                                   // 000000005C3C: BEFE0114
	global_atomic_add_f32 v6, v48, s[8:9]                      // 000000005C40: DD348000 00083006
	global_atomic_add_f32 v6, v52, s[8:9] offset:256           // 000000005C48: DD348100 00083406
	global_atomic_add_f32 v6, v56, s[8:9] offset:512           // 000000005C50: DD348200 00083806
	global_atomic_add_f32 v6, v60, s[8:9] offset:768           // 000000005C58: DD348300 00083C06
	s_mov_b64 exec, s[36:37]                                   // 000000005C60: BEFE0124
	v_mov_b32_e32 v6, v39                                      // 000000005C64: 7E0C0327
	s_mov_b64 s[60:61], 0                                      // 000000005C68: BEBC0180
	v_readlane_b32 s82, v3, 2                                  // 000000005C6C: D2890052 00010503
	s_and_b32 s82, s82, 0xffffff                               // 000000005C74: 8652FF52 00FFFFFF
	s_cmp_lt_u32 s82, s66                                      // 000000005C7C: BF0A4252
	s_cselect_b32 s20, s36, s60                                // 000000005C80: 85143C24
	v_readlane_b32 s82, v3, 3                                  // 000000005C84: D2890052 00010703
	s_and_b32 s82, s82, 0xffffff                               // 000000005C8C: 8652FF52 00FFFFFF
	s_cmp_lt_u32 s82, s66                                      // 000000005C94: BF0A4252
	s_cselect_b32 s21, s36, s60                                // 000000005C98: 85153C24
	s_mov_b64 exec, s[20:21]                                   // 000000005C9C: BEFE0114
	global_atomic_add_f32 v6, v49, s[8:9]                      // 000000005CA0: DD348000 00083106
	global_atomic_add_f32 v6, v53, s[8:9] offset:256           // 000000005CA8: DD348100 00083506
	global_atomic_add_f32 v6, v57, s[8:9] offset:512           // 000000005CB0: DD348200 00083906
	global_atomic_add_f32 v6, v61, s[8:9] offset:768           // 000000005CB8: DD348300 00083D06
	s_mov_b64 exec, s[36:37]                                   // 000000005CC0: BEFE0124
	v_mov_b32_e32 v6, v40                                      // 000000005CC4: 7E0C0328
	s_mov_b64 s[60:61], 0                                      // 000000005CC8: BEBC0180
	v_readlane_b32 s82, v3, 4                                  // 000000005CCC: D2890052 00010903
	s_and_b32 s82, s82, 0xffffff                               // 000000005CD4: 8652FF52 00FFFFFF
	s_cmp_lt_u32 s82, s66                                      // 000000005CDC: BF0A4252
	s_cselect_b32 s20, s36, s60                                // 000000005CE0: 85143C24
	v_readlane_b32 s82, v3, 5                                  // 000000005CE4: D2890052 00010B03
	s_and_b32 s82, s82, 0xffffff                               // 000000005CEC: 8652FF52 00FFFFFF
	s_cmp_lt_u32 s82, s66                                      // 000000005CF4: BF0A4252
	s_cselect_b32 s21, s36, s60                                // 000000005CF8: 85153C24
	s_mov_b64 exec, s[20:21]                                   // 000000005CFC: BEFE0114
	global_atomic_add_f32 v6, v64, s[8:9]                      // 000000005D00: DD348000 00084006
	global_atomic_add_f32 v6, v68, s[8:9] offset:256           // 000000005D08: DD348100 00084406
	global_atomic_add_f32 v6, v72, s[8:9] offset:512           // 000000005D10: DD348200 00084806
	global_atomic_add_f32 v6, v76, s[8:9] offset:768           // 000000005D18: DD348300 00084C06
	s_mov_b64 exec, s[36:37]                                   // 000000005D20: BEFE0124
	v_mov_b32_e32 v6, v41                                      // 000000005D24: 7E0C0329
	s_mov_b64 s[60:61], 0                                      // 000000005D28: BEBC0180
	v_readlane_b32 s82, v3, 6                                  // 000000005D2C: D2890052 00010D03
	s_and_b32 s82, s82, 0xffffff                               // 000000005D34: 8652FF52 00FFFFFF
	s_cmp_lt_u32 s82, s66                                      // 000000005D3C: BF0A4252
	s_cselect_b32 s20, s36, s60                                // 000000005D40: 85143C24
	v_readlane_b32 s82, v3, 7                                  // 000000005D44: D2890052 00010F03
	s_and_b32 s82, s82, 0xffffff                               // 000000005D4C: 8652FF52 00FFFFFF
	s_cmp_lt_u32 s82, s66                                      // 000000005D54: BF0A4252
	s_cselect_b32 s21, s36, s60                                // 000000005D58: 85153C24
	s_mov_b64 exec, s[20:21]                                   // 000000005D5C: BEFE0114
	global_atomic_add_f32 v6, v65, s[8:9]                      // 000000005D60: DD348000 00084106
	global_atomic_add_f32 v6, v69, s[8:9] offset:256           // 000000005D68: DD348100 00084506
	global_atomic_add_f32 v6, v73, s[8:9] offset:512           // 000000005D70: DD348200 00084906
	global_atomic_add_f32 v6, v77, s[8:9] offset:768           // 000000005D78: DD348300 00084D06
	s_mov_b64 exec, s[36:37]                                   // 000000005D80: BEFE0124
	ds_write_b64 v20, v[50:51]                                 // 000000005D84: D89A0000 00003214
	ds_write_b64 v20, v[54:55] offset:8704                     // 000000005D8C: D89A2200 00003614
	ds_write_b64 v20, v[58:59] offset:2176                     // 000000005D94: D89A0880 00003A14
	ds_write_b64 v20, v[62:63] offset:10880                    // 000000005D9C: D89A2A80 00003E14
	ds_write_b64 v20, v[66:67] offset:4352                     // 000000005DA4: D89A1100 00004214
	ds_write_b64 v20, v[70:71] offset:13056                    // 000000005DAC: D89A3300 00004614
	ds_write_b64 v20, v[74:75] offset:6528                     // 000000005DB4: D89A1980 00004A14
	ds_write_b64 v20, v[78:79] offset:15232                    // 000000005DBC: D89A3B80 00004E14
	s_waitcnt lgkmcnt(0)                                       // 000000005DC4: BF8CC07F
	s_barrier                                                  // 000000005DC8: BF8A0000
	ds_read_b32 v50, v21                                       // 000000005DCC: D86C0000 32000015
	ds_read_b32 v51, v21 offset:64                             // 000000005DD4: D86C0040 33000015
	ds_read_b32 v54, v21 offset:2176                           // 000000005DDC: D86C0880 36000015
	ds_read_b32 v55, v21 offset:2240                           // 000000005DE4: D86C08C0 37000015
	ds_read_b32 v58, v21 offset:4352                           // 000000005DEC: D86C1100 3A000015
	ds_read_b32 v59, v21 offset:4416                           // 000000005DF4: D86C1140 3B000015
	ds_read_b32 v62, v21 offset:6528                           // 000000005DFC: D86C1980 3E000015
	ds_read_b32 v63, v21 offset:6592                           // 000000005E04: D86C19C0 3F000015
	ds_read_b32 v66, v21 offset:8704                           // 000000005E0C: D86C2200 42000015
	ds_read_b32 v67, v21 offset:8768                           // 000000005E14: D86C2240 43000015
	ds_read_b32 v70, v21 offset:10880                          // 000000005E1C: D86C2A80 46000015
	ds_read_b32 v71, v21 offset:10944                          // 000000005E24: D86C2AC0 47000015
	ds_read_b32 v74, v21 offset:13056                          // 000000005E2C: D86C3300 4A000015
	ds_read_b32 v75, v21 offset:13120                          // 000000005E34: D86C3340 4B000015
	ds_read_b32 v78, v21 offset:15232                          // 000000005E3C: D86C3B80 4E000015
	ds_read_b32 v79, v21 offset:15296                          // 000000005E44: D86C3BC0 4F000015
	s_waitcnt lgkmcnt(0)                                       // 000000005E4C: BF8CC07F
	v_mov_b32_e32 v7, 0                                        // 000000005E50: 7E0E0280
	s_mov_b64 exec, s[36:37]                                   // 000000005E54: BEFE0124
	v_mov_b32_e32 v6, v38                                      // 000000005E58: 7E0C0326
	s_mov_b64 s[60:61], 0                                      // 000000005E5C: BEBC0180
	v_readlane_b32 s82, v3, 0                                  // 000000005E60: D2890052 00010103
	s_and_b32 s82, s82, 0xffffff                               // 000000005E68: 8652FF52 00FFFFFF
	s_cmp_lt_u32 s82, s66                                      // 000000005E70: BF0A4252
	s_cselect_b32 s20, s36, s60                                // 000000005E74: 85143C24
	v_readlane_b32 s82, v3, 1                                  // 000000005E78: D2890052 00010303
	s_and_b32 s82, s82, 0xffffff                               // 000000005E80: 8652FF52 00FFFFFF
	s_cmp_lt_u32 s82, s66                                      // 000000005E88: BF0A4252
	s_cselect_b32 s21, s36, s60                                // 000000005E8C: 85153C24
	s_mov_b64 exec, s[20:21]                                   // 000000005E90: BEFE0114
	global_atomic_add_f32 v6, v50, s[8:9] offset:8             // 000000005E94: DD348008 00083206
	global_atomic_add_f32 v6, v54, s[8:9] offset:264           // 000000005E9C: DD348108 00083606
	global_atomic_add_f32 v6, v58, s[8:9] offset:520           // 000000005EA4: DD348208 00083A06
	global_atomic_add_f32 v6, v62, s[8:9] offset:776           // 000000005EAC: DD348308 00083E06
	s_mov_b64 exec, s[36:37]                                   // 000000005EB4: BEFE0124
	v_mov_b32_e32 v6, v39                                      // 000000005EB8: 7E0C0327
	s_mov_b64 s[60:61], 0                                      // 000000005EBC: BEBC0180
	v_readlane_b32 s82, v3, 2                                  // 000000005EC0: D2890052 00010503
	s_and_b32 s82, s82, 0xffffff                               // 000000005EC8: 8652FF52 00FFFFFF
	s_cmp_lt_u32 s82, s66                                      // 000000005ED0: BF0A4252
	s_cselect_b32 s20, s36, s60                                // 000000005ED4: 85143C24
	v_readlane_b32 s82, v3, 3                                  // 000000005ED8: D2890052 00010703
	s_and_b32 s82, s82, 0xffffff                               // 000000005EE0: 8652FF52 00FFFFFF
	s_cmp_lt_u32 s82, s66                                      // 000000005EE8: BF0A4252
	s_cselect_b32 s21, s36, s60                                // 000000005EEC: 85153C24
	s_mov_b64 exec, s[20:21]                                   // 000000005EF0: BEFE0114
	global_atomic_add_f32 v6, v51, s[8:9] offset:8             // 000000005EF4: DD348008 00083306
	global_atomic_add_f32 v6, v55, s[8:9] offset:264           // 000000005EFC: DD348108 00083706
	global_atomic_add_f32 v6, v59, s[8:9] offset:520           // 000000005F04: DD348208 00083B06
	global_atomic_add_f32 v6, v63, s[8:9] offset:776           // 000000005F0C: DD348308 00083F06
	s_mov_b64 exec, s[36:37]                                   // 000000005F14: BEFE0124
	v_mov_b32_e32 v6, v40                                      // 000000005F18: 7E0C0328
	s_mov_b64 s[60:61], 0                                      // 000000005F1C: BEBC0180
	v_readlane_b32 s82, v3, 4                                  // 000000005F20: D2890052 00010903
	s_and_b32 s82, s82, 0xffffff                               // 000000005F28: 8652FF52 00FFFFFF
	s_cmp_lt_u32 s82, s66                                      // 000000005F30: BF0A4252
	s_cselect_b32 s20, s36, s60                                // 000000005F34: 85143C24
	v_readlane_b32 s82, v3, 5                                  // 000000005F38: D2890052 00010B03
	s_and_b32 s82, s82, 0xffffff                               // 000000005F40: 8652FF52 00FFFFFF
	s_cmp_lt_u32 s82, s66                                      // 000000005F48: BF0A4252
	s_cselect_b32 s21, s36, s60                                // 000000005F4C: 85153C24
	s_mov_b64 exec, s[20:21]                                   // 000000005F50: BEFE0114
	global_atomic_add_f32 v6, v66, s[8:9] offset:8             // 000000005F54: DD348008 00084206
	global_atomic_add_f32 v6, v70, s[8:9] offset:264           // 000000005F5C: DD348108 00084606
	global_atomic_add_f32 v6, v74, s[8:9] offset:520           // 000000005F64: DD348208 00084A06
	global_atomic_add_f32 v6, v78, s[8:9] offset:776           // 000000005F6C: DD348308 00084E06
	s_mov_b64 exec, s[36:37]                                   // 000000005F74: BEFE0124
	v_mov_b32_e32 v6, v41                                      // 000000005F78: 7E0C0329
	s_mov_b64 s[60:61], 0                                      // 000000005F7C: BEBC0180
	v_readlane_b32 s82, v3, 6                                  // 000000005F80: D2890052 00010D03
	s_and_b32 s82, s82, 0xffffff                               // 000000005F88: 8652FF52 00FFFFFF
	s_cmp_lt_u32 s82, s66                                      // 000000005F90: BF0A4252
	s_cselect_b32 s20, s36, s60                                // 000000005F94: 85143C24
	v_readlane_b32 s82, v3, 7                                  // 000000005F98: D2890052 00010F03
	s_and_b32 s82, s82, 0xffffff                               // 000000005FA0: 8652FF52 00FFFFFF
	s_cmp_lt_u32 s82, s66                                      // 000000005FA8: BF0A4252
	s_cselect_b32 s21, s36, s60                                // 000000005FAC: 85153C24
	s_mov_b64 exec, s[20:21]                                   // 000000005FB0: BEFE0114
	global_atomic_add_f32 v6, v67, s[8:9] offset:8             // 000000005FB4: DD348008 00084306
	global_atomic_add_f32 v6, v71, s[8:9] offset:264           // 000000005FBC: DD348108 00084706
	global_atomic_add_f32 v6, v75, s[8:9] offset:520           // 000000005FC4: DD348208 00084B06
	global_atomic_add_f32 v6, v79, s[8:9] offset:776           // 000000005FCC: DD348308 00084F06
	s_mov_b64 exec, s[36:37]                                   // 000000005FD4: BEFE0124
	ds_write_b64 v20, v[80:81]                                 // 000000005FD8: D89A0000 00005014
	ds_write_b64 v20, v[84:85] offset:8704                     // 000000005FE0: D89A2200 00005414
	ds_write_b64 v20, v[88:89] offset:2176                     // 000000005FE8: D89A0880 00005814
	ds_write_b64 v20, v[92:93] offset:10880                    // 000000005FF0: D89A2A80 00005C14
	ds_write_b64 v20, v[96:97] offset:4352                     // 000000005FF8: D89A1100 00006014
	ds_write_b64 v20, v[100:101] offset:13056                  // 000000006000: D89A3300 00006414
	ds_write_b64 v20, v[104:105] offset:6528                   // 000000006008: D89A1980 00006814
	ds_write_b64 v20, v[108:109] offset:15232                  // 000000006010: D89A3B80 00006C14
	s_waitcnt lgkmcnt(0)                                       // 000000006018: BF8CC07F
	s_barrier                                                  // 00000000601C: BF8A0000
	ds_read_b32 v80, v21                                       // 000000006020: D86C0000 50000015
	ds_read_b32 v81, v21 offset:64                             // 000000006028: D86C0040 51000015
	ds_read_b32 v84, v21 offset:2176                           // 000000006030: D86C0880 54000015
	ds_read_b32 v85, v21 offset:2240                           // 000000006038: D86C08C0 55000015
	ds_read_b32 v88, v21 offset:4352                           // 000000006040: D86C1100 58000015
	ds_read_b32 v89, v21 offset:4416                           // 000000006048: D86C1140 59000015
	ds_read_b32 v92, v21 offset:6528                           // 000000006050: D86C1980 5C000015
	ds_read_b32 v93, v21 offset:6592                           // 000000006058: D86C19C0 5D000015
	ds_read_b32 v96, v21 offset:8704                           // 000000006060: D86C2200 60000015
	ds_read_b32 v97, v21 offset:8768                           // 000000006068: D86C2240 61000015
	ds_read_b32 v100, v21 offset:10880                         // 000000006070: D86C2A80 64000015
	ds_read_b32 v101, v21 offset:10944                         // 000000006078: D86C2AC0 65000015
	ds_read_b32 v104, v21 offset:13056                         // 000000006080: D86C3300 68000015
	ds_read_b32 v105, v21 offset:13120                         // 000000006088: D86C3340 69000015
	ds_read_b32 v108, v21 offset:15232                         // 000000006090: D86C3B80 6C000015
	ds_read_b32 v109, v21 offset:15296                         // 000000006098: D86C3BC0 6D000015
	s_mul_i32 s60, s65, 4                                      // 0000000060A0: 923C8441
	s_add_u32 s8, s60, s8                                      // 0000000060A4: 8008083C
	s_addc_u32 s9, 0, s9                                       // 0000000060A8: 82090980
	s_waitcnt lgkmcnt(0)                                       // 0000000060AC: BF8CC07F
	v_mov_b32_e32 v7, 0                                        // 0000000060B0: 7E0E0280
	s_mov_b64 exec, s[36:37]                                   // 0000000060B4: BEFE0124
	v_mov_b32_e32 v6, v38                                      // 0000000060B8: 7E0C0326
	s_mov_b64 s[60:61], 0                                      // 0000000060BC: BEBC0180
	v_readlane_b32 s82, v3, 0                                  // 0000000060C0: D2890052 00010103
	s_and_b32 s82, s82, 0xffffff                               // 0000000060C8: 8652FF52 00FFFFFF
	s_cmp_lt_u32 s82, s66                                      // 0000000060D0: BF0A4252
	s_cselect_b32 s20, s36, s60                                // 0000000060D4: 85143C24
	v_readlane_b32 s82, v3, 1                                  // 0000000060D8: D2890052 00010303
	s_and_b32 s82, s82, 0xffffff                               // 0000000060E0: 8652FF52 00FFFFFF
	s_cmp_lt_u32 s82, s66                                      // 0000000060E8: BF0A4252
	s_cselect_b32 s21, s36, s60                                // 0000000060EC: 85153C24
	s_mov_b64 exec, s[20:21]                                   // 0000000060F0: BEFE0114
	global_atomic_add_f32 v6, v80, s[8:9]                      // 0000000060F4: DD348000 00085006
	global_atomic_add_f32 v6, v84, s[8:9] offset:256           // 0000000060FC: DD348100 00085406
	global_atomic_add_f32 v6, v88, s[8:9] offset:512           // 000000006104: DD348200 00085806
	global_atomic_add_f32 v6, v92, s[8:9] offset:768           // 00000000610C: DD348300 00085C06
	s_mov_b64 exec, s[36:37]                                   // 000000006114: BEFE0124
	v_mov_b32_e32 v6, v39                                      // 000000006118: 7E0C0327
	s_mov_b64 s[60:61], 0                                      // 00000000611C: BEBC0180
	v_readlane_b32 s82, v3, 2                                  // 000000006120: D2890052 00010503
	s_and_b32 s82, s82, 0xffffff                               // 000000006128: 8652FF52 00FFFFFF
	s_cmp_lt_u32 s82, s66                                      // 000000006130: BF0A4252
	s_cselect_b32 s20, s36, s60                                // 000000006134: 85143C24
	v_readlane_b32 s82, v3, 3                                  // 000000006138: D2890052 00010703
	s_and_b32 s82, s82, 0xffffff                               // 000000006140: 8652FF52 00FFFFFF
	s_cmp_lt_u32 s82, s66                                      // 000000006148: BF0A4252
	s_cselect_b32 s21, s36, s60                                // 00000000614C: 85153C24
	s_mov_b64 exec, s[20:21]                                   // 000000006150: BEFE0114
	global_atomic_add_f32 v6, v81, s[8:9]                      // 000000006154: DD348000 00085106
	global_atomic_add_f32 v6, v85, s[8:9] offset:256           // 00000000615C: DD348100 00085506
	global_atomic_add_f32 v6, v89, s[8:9] offset:512           // 000000006164: DD348200 00085906
	global_atomic_add_f32 v6, v93, s[8:9] offset:768           // 00000000616C: DD348300 00085D06
	s_mov_b64 exec, s[36:37]                                   // 000000006174: BEFE0124
	v_mov_b32_e32 v6, v40                                      // 000000006178: 7E0C0328
	s_mov_b64 s[60:61], 0                                      // 00000000617C: BEBC0180
	v_readlane_b32 s82, v3, 4                                  // 000000006180: D2890052 00010903
	s_and_b32 s82, s82, 0xffffff                               // 000000006188: 8652FF52 00FFFFFF
	s_cmp_lt_u32 s82, s66                                      // 000000006190: BF0A4252
	s_cselect_b32 s20, s36, s60                                // 000000006194: 85143C24
	v_readlane_b32 s82, v3, 5                                  // 000000006198: D2890052 00010B03
	s_and_b32 s82, s82, 0xffffff                               // 0000000061A0: 8652FF52 00FFFFFF
	s_cmp_lt_u32 s82, s66                                      // 0000000061A8: BF0A4252
	s_cselect_b32 s21, s36, s60                                // 0000000061AC: 85153C24
	s_mov_b64 exec, s[20:21]                                   // 0000000061B0: BEFE0114
	global_atomic_add_f32 v6, v96, s[8:9]                      // 0000000061B4: DD348000 00086006
	global_atomic_add_f32 v6, v100, s[8:9] offset:256          // 0000000061BC: DD348100 00086406
	global_atomic_add_f32 v6, v104, s[8:9] offset:512          // 0000000061C4: DD348200 00086806
	global_atomic_add_f32 v6, v108, s[8:9] offset:768          // 0000000061CC: DD348300 00086C06
	s_mov_b64 exec, s[36:37]                                   // 0000000061D4: BEFE0124
	v_mov_b32_e32 v6, v41                                      // 0000000061D8: 7E0C0329
	s_mov_b64 s[60:61], 0                                      // 0000000061DC: BEBC0180
	v_readlane_b32 s82, v3, 6                                  // 0000000061E0: D2890052 00010D03
	s_and_b32 s82, s82, 0xffffff                               // 0000000061E8: 8652FF52 00FFFFFF
	s_cmp_lt_u32 s82, s66                                      // 0000000061F0: BF0A4252
	s_cselect_b32 s20, s36, s60                                // 0000000061F4: 85143C24
	v_readlane_b32 s82, v3, 7                                  // 0000000061F8: D2890052 00010F03
	s_and_b32 s82, s82, 0xffffff                               // 000000006200: 8652FF52 00FFFFFF
	s_cmp_lt_u32 s82, s66                                      // 000000006208: BF0A4252
	s_cselect_b32 s21, s36, s60                                // 00000000620C: 85153C24
	s_mov_b64 exec, s[20:21]                                   // 000000006210: BEFE0114
	global_atomic_add_f32 v6, v97, s[8:9]                      // 000000006214: DD348000 00086106
	global_atomic_add_f32 v6, v101, s[8:9] offset:256          // 00000000621C: DD348100 00086506
	global_atomic_add_f32 v6, v105, s[8:9] offset:512          // 000000006224: DD348200 00086906
	global_atomic_add_f32 v6, v109, s[8:9] offset:768          // 00000000622C: DD348300 00086D06
	s_mov_b64 exec, s[36:37]                                   // 000000006234: BEFE0124
	ds_write_b64 v20, v[82:83]                                 // 000000006238: D89A0000 00005214
	ds_write_b64 v20, v[86:87] offset:8704                     // 000000006240: D89A2200 00005614
	ds_write_b64 v20, v[90:91] offset:2176                     // 000000006248: D89A0880 00005A14
	ds_write_b64 v20, v[94:95] offset:10880                    // 000000006250: D89A2A80 00005E14
	ds_write_b64 v20, v[98:99] offset:4352                     // 000000006258: D89A1100 00006214
	ds_write_b64 v20, v[102:103] offset:13056                  // 000000006260: D89A3300 00006614
	ds_write_b64 v20, v[106:107] offset:6528                   // 000000006268: D89A1980 00006A14
	ds_write_b64 v20, v[110:111] offset:15232                  // 000000006270: D89A3B80 00006E14
	s_waitcnt lgkmcnt(0)                                       // 000000006278: BF8CC07F
	s_barrier                                                  // 00000000627C: BF8A0000
	ds_read_b32 v82, v21                                       // 000000006280: D86C0000 52000015
	ds_read_b32 v83, v21 offset:64                             // 000000006288: D86C0040 53000015
	ds_read_b32 v86, v21 offset:2176                           // 000000006290: D86C0880 56000015
	ds_read_b32 v87, v21 offset:2240                           // 000000006298: D86C08C0 57000015
	ds_read_b32 v90, v21 offset:4352                           // 0000000062A0: D86C1100 5A000015
	ds_read_b32 v91, v21 offset:4416                           // 0000000062A8: D86C1140 5B000015
	ds_read_b32 v94, v21 offset:6528                           // 0000000062B0: D86C1980 5E000015
	ds_read_b32 v95, v21 offset:6592                           // 0000000062B8: D86C19C0 5F000015
	ds_read_b32 v98, v21 offset:8704                           // 0000000062C0: D86C2200 62000015
	ds_read_b32 v99, v21 offset:8768                           // 0000000062C8: D86C2240 63000015
	ds_read_b32 v102, v21 offset:10880                         // 0000000062D0: D86C2A80 66000015
	ds_read_b32 v103, v21 offset:10944                         // 0000000062D8: D86C2AC0 67000015
	ds_read_b32 v106, v21 offset:13056                         // 0000000062E0: D86C3300 6A000015
	ds_read_b32 v107, v21 offset:13120                         // 0000000062E8: D86C3340 6B000015
	ds_read_b32 v110, v21 offset:15232                         // 0000000062F0: D86C3B80 6E000015
	ds_read_b32 v111, v21 offset:15296                         // 0000000062F8: D86C3BC0 6F000015
	s_waitcnt lgkmcnt(0)                                       // 000000006300: BF8CC07F
	v_mov_b32_e32 v7, 0                                        // 000000006304: 7E0E0280
	s_mov_b64 exec, s[36:37]                                   // 000000006308: BEFE0124
	v_mov_b32_e32 v6, v38                                      // 00000000630C: 7E0C0326
	s_mov_b64 s[60:61], 0                                      // 000000006310: BEBC0180
	v_readlane_b32 s82, v3, 0                                  // 000000006314: D2890052 00010103
	s_and_b32 s82, s82, 0xffffff                               // 00000000631C: 8652FF52 00FFFFFF
	s_cmp_lt_u32 s82, s66                                      // 000000006324: BF0A4252
	s_cselect_b32 s20, s36, s60                                // 000000006328: 85143C24
	v_readlane_b32 s82, v3, 1                                  // 00000000632C: D2890052 00010303
	s_and_b32 s82, s82, 0xffffff                               // 000000006334: 8652FF52 00FFFFFF
	s_cmp_lt_u32 s82, s66                                      // 00000000633C: BF0A4252
	s_cselect_b32 s21, s36, s60                                // 000000006340: 85153C24
	s_mov_b64 exec, s[20:21]                                   // 000000006344: BEFE0114
	global_atomic_add_f32 v6, v82, s[8:9] offset:8             // 000000006348: DD348008 00085206
	global_atomic_add_f32 v6, v86, s[8:9] offset:264           // 000000006350: DD348108 00085606
	global_atomic_add_f32 v6, v90, s[8:9] offset:520           // 000000006358: DD348208 00085A06
	global_atomic_add_f32 v6, v94, s[8:9] offset:776           // 000000006360: DD348308 00085E06
	s_mov_b64 exec, s[36:37]                                   // 000000006368: BEFE0124
	v_mov_b32_e32 v6, v39                                      // 00000000636C: 7E0C0327
	s_mov_b64 s[60:61], 0                                      // 000000006370: BEBC0180
	v_readlane_b32 s82, v3, 2                                  // 000000006374: D2890052 00010503
	s_and_b32 s82, s82, 0xffffff                               // 00000000637C: 8652FF52 00FFFFFF
	s_cmp_lt_u32 s82, s66                                      // 000000006384: BF0A4252
	s_cselect_b32 s20, s36, s60                                // 000000006388: 85143C24
	v_readlane_b32 s82, v3, 3                                  // 00000000638C: D2890052 00010703
	s_and_b32 s82, s82, 0xffffff                               // 000000006394: 8652FF52 00FFFFFF
	s_cmp_lt_u32 s82, s66                                      // 00000000639C: BF0A4252
	s_cselect_b32 s21, s36, s60                                // 0000000063A0: 85153C24
	s_mov_b64 exec, s[20:21]                                   // 0000000063A4: BEFE0114
	global_atomic_add_f32 v6, v83, s[8:9] offset:8             // 0000000063A8: DD348008 00085306
	global_atomic_add_f32 v6, v87, s[8:9] offset:264           // 0000000063B0: DD348108 00085706
	global_atomic_add_f32 v6, v91, s[8:9] offset:520           // 0000000063B8: DD348208 00085B06
	global_atomic_add_f32 v6, v95, s[8:9] offset:776           // 0000000063C0: DD348308 00085F06
	s_mov_b64 exec, s[36:37]                                   // 0000000063C8: BEFE0124
	v_mov_b32_e32 v6, v40                                      // 0000000063CC: 7E0C0328
	s_mov_b64 s[60:61], 0                                      // 0000000063D0: BEBC0180
	v_readlane_b32 s82, v3, 4                                  // 0000000063D4: D2890052 00010903
	s_and_b32 s82, s82, 0xffffff                               // 0000000063DC: 8652FF52 00FFFFFF
	s_cmp_lt_u32 s82, s66                                      // 0000000063E4: BF0A4252
	s_cselect_b32 s20, s36, s60                                // 0000000063E8: 85143C24
	v_readlane_b32 s82, v3, 5                                  // 0000000063EC: D2890052 00010B03
	s_and_b32 s82, s82, 0xffffff                               // 0000000063F4: 8652FF52 00FFFFFF
	s_cmp_lt_u32 s82, s66                                      // 0000000063FC: BF0A4252
	s_cselect_b32 s21, s36, s60                                // 000000006400: 85153C24
	s_mov_b64 exec, s[20:21]                                   // 000000006404: BEFE0114
	global_atomic_add_f32 v6, v98, s[8:9] offset:8             // 000000006408: DD348008 00086206
	global_atomic_add_f32 v6, v102, s[8:9] offset:264          // 000000006410: DD348108 00086606
	global_atomic_add_f32 v6, v106, s[8:9] offset:520          // 000000006418: DD348208 00086A06
	global_atomic_add_f32 v6, v110, s[8:9] offset:776          // 000000006420: DD348308 00086E06
	s_mov_b64 exec, s[36:37]                                   // 000000006428: BEFE0124
	v_mov_b32_e32 v6, v41                                      // 00000000642C: 7E0C0329
	s_mov_b64 s[60:61], 0                                      // 000000006430: BEBC0180
	v_readlane_b32 s82, v3, 6                                  // 000000006434: D2890052 00010D03
	s_and_b32 s82, s82, 0xffffff                               // 00000000643C: 8652FF52 00FFFFFF
	s_cmp_lt_u32 s82, s66                                      // 000000006444: BF0A4252
	s_cselect_b32 s20, s36, s60                                // 000000006448: 85143C24
	v_readlane_b32 s82, v3, 7                                  // 00000000644C: D2890052 00010F03
	s_and_b32 s82, s82, 0xffffff                               // 000000006454: 8652FF52 00FFFFFF
	s_cmp_lt_u32 s82, s66                                      // 00000000645C: BF0A4252
	s_cselect_b32 s21, s36, s60                                // 000000006460: 85153C24
	s_mov_b64 exec, s[20:21]                                   // 000000006464: BEFE0114
	global_atomic_add_f32 v6, v99, s[8:9] offset:8             // 000000006468: DD348008 00086306
	global_atomic_add_f32 v6, v103, s[8:9] offset:264          // 000000006470: DD348108 00086706
	global_atomic_add_f32 v6, v107, s[8:9] offset:520          // 000000006478: DD348208 00086B06
	global_atomic_add_f32 v6, v111, s[8:9] offset:776          // 000000006480: DD348308 00086F06
	s_mov_b64 exec, s[36:37]                                   // 000000006488: BEFE0124
	s_branch label_1B35                                        // 00000000648C: BF820C8E

0000000000006490 <label_0EA7>:
	s_waitcnt vmcnt(12) lgkmcnt(0)                             // 000000006490: BF8C007C
	v_mfma_f32_16x16x32_fp8_fp8 v[48:51], a[32:33], a[0:1], v[48:51]// 000000006494: D3F30030 1CC20120
	buffer_load_dwordx4 a[96:99], v42, s[24:27], 0 offen       // 00000000649C: E05C1000 8086602A
	v_mfma_f32_16x16x32_fp8_fp8 v[48:51], a[34:35], a[2:3], v[48:51]// 0000000064A4: D3F30030 1CC20522
	v_mfma_f32_16x16x32_fp8_fp8 v[48:51], a[36:37], a[4:5], v[48:51]// 0000000064AC: D3F30030 1CC20924
	v_mfma_f32_16x16x32_fp8_fp8 v[48:51], a[38:39], a[6:7], v[48:51]// 0000000064B4: D3F30030 1CC20D26
	v_mfma_f32_16x16x32_fp8_fp8 v[56:59], a[40:41], a[0:1], v[56:59]// 0000000064BC: D3F30038 1CE20128
	buffer_load_dwordx4 a[100:103], v42, s[24:27], 0 offen offset:1024// 0000000064C4: E05C1400 8086642A
	v_mfma_f32_16x16x32_fp8_fp8 v[56:59], a[42:43], a[2:3], v[56:59]// 0000000064CC: D3F30038 1CE2052A
	v_mfma_f32_16x16x32_fp8_fp8 v[56:59], a[44:45], a[4:5], v[56:59]// 0000000064D4: D3F30038 1CE2092C
	v_mfma_f32_16x16x32_fp8_fp8 v[56:59], a[46:47], a[6:7], v[56:59]// 0000000064DC: D3F30038 1CE20D2E
	v_mfma_f32_16x16x32_fp8_fp8 v[64:67], a[48:49], a[0:1], v[64:67]// 0000000064E4: D3F30040 1D020130
	buffer_load_dwordx4 a[104:107], v43, s[24:27], 0 offen     // 0000000064EC: E05C1000 8086682B
	v_mfma_f32_16x16x32_fp8_fp8 v[64:67], a[50:51], a[2:3], v[64:67]// 0000000064F4: D3F30040 1D020532
	v_mfma_f32_16x16x32_fp8_fp8 v[64:67], a[52:53], a[4:5], v[64:67]// 0000000064FC: D3F30040 1D020934
	v_mfma_f32_16x16x32_fp8_fp8 v[64:67], a[54:55], a[6:7], v[64:67]// 000000006504: D3F30040 1D020D36
	v_mfma_f32_16x16x32_fp8_fp8 v[72:75], a[56:57], a[0:1], v[72:75]// 00000000650C: D3F30048 1D220138
	buffer_load_dwordx4 a[108:111], v43, s[24:27], 0 offen offset:1024// 000000006514: E05C1400 80866C2B
	v_mfma_f32_16x16x32_fp8_fp8 v[72:75], a[58:59], a[2:3], v[72:75]// 00000000651C: D3F30048 1D22053A
	v_mfma_f32_16x16x32_fp8_fp8 v[72:75], a[60:61], a[4:5], v[72:75]// 000000006524: D3F30048 1D22093C
	v_mfma_f32_16x16x32_fp8_fp8 v[72:75], a[62:63], a[6:7], v[72:75]// 00000000652C: D3F30048 1D220D3E
	v_mfma_f32_16x16x32_fp8_fp8 v[52:55], a[32:33], a[8:9], v[52:55]// 000000006534: D3F30034 1CD21120
	buffer_load_dwordx4 a[112:115], v44, s[24:27], 0 offen     // 00000000653C: E05C1000 8086702C
	v_mfma_f32_16x16x32_fp8_fp8 v[52:55], a[34:35], a[10:11], v[52:55]// 000000006544: D3F30034 1CD21522
	v_mfma_f32_16x16x32_fp8_fp8 v[52:55], a[36:37], a[12:13], v[52:55]// 00000000654C: D3F30034 1CD21924
	v_mfma_f32_16x16x32_fp8_fp8 v[52:55], a[38:39], a[14:15], v[52:55]// 000000006554: D3F30034 1CD21D26
	v_mfma_f32_16x16x32_fp8_fp8 v[60:63], a[40:41], a[8:9], v[60:63]// 00000000655C: D3F3003C 1CF21128
	buffer_load_dwordx4 a[116:119], v44, s[24:27], 0 offen offset:1024// 000000006564: E05C1400 8086742C
	v_mfma_f32_16x16x32_fp8_fp8 v[60:63], a[42:43], a[10:11], v[60:63]// 00000000656C: D3F3003C 1CF2152A
	v_mfma_f32_16x16x32_fp8_fp8 v[60:63], a[44:45], a[12:13], v[60:63]// 000000006574: D3F3003C 1CF2192C
	v_mfma_f32_16x16x32_fp8_fp8 v[60:63], a[46:47], a[14:15], v[60:63]// 00000000657C: D3F3003C 1CF21D2E
	v_mfma_f32_16x16x32_fp8_fp8 v[68:71], a[48:49], a[8:9], v[68:71]// 000000006584: D3F30044 1D121130
	buffer_load_dwordx4 a[120:123], v45, s[24:27], 0 offen     // 00000000658C: E05C1000 8086782D
	v_mfma_f32_16x16x32_fp8_fp8 v[68:71], a[50:51], a[10:11], v[68:71]// 000000006594: D3F30044 1D121532
	v_mfma_f32_16x16x32_fp8_fp8 v[68:71], a[52:53], a[12:13], v[68:71]// 00000000659C: D3F30044 1D121934
	v_mfma_f32_16x16x32_fp8_fp8 v[68:71], a[54:55], a[14:15], v[68:71]// 0000000065A4: D3F30044 1D121D36
	v_mfma_f32_16x16x32_fp8_fp8 v[76:79], a[56:57], a[8:9], v[76:79]// 0000000065AC: D3F3004C 1D321138
	buffer_load_dwordx4 a[124:127], v45, s[24:27], 0 offen offset:1024// 0000000065B4: E05C1400 80867C2D
	buffer_load_dword v38, s[20:23], 0 offen lds               // 0000000065BC: E0511000 80050026
	s_add_u32 m0, 0x100, s50                                   // 0000000065C4: 807C32FF 00000100
	v_mfma_f32_16x16x32_fp8_fp8 v[76:79], a[58:59], a[10:11], v[76:79]// 0000000065CC: D3F3004C 1D32153A
	v_mfma_f32_16x16x32_fp8_fp8 v[76:79], a[60:61], a[12:13], v[76:79]// 0000000065D4: D3F3004C 1D32193C
	buffer_load_dword v39, s[20:23], 0 offen lds               // 0000000065DC: E0511000 80050027
	s_add_u32 m0, 0x200, s50                                   // 0000000065E4: 807C32FF 00000200
	v_mfma_f32_16x16x32_fp8_fp8 v[76:79], a[62:63], a[14:15], v[76:79]// 0000000065EC: D3F3004C 1D321D3E
	buffer_load_dword v40, s[20:23], 0 offen lds               // 0000000065F4: E0511000 80050028
	s_add_u32 m0, 0x300, s50                                   // 0000000065FC: 807C32FF 00000300
	buffer_load_dword v41, s[20:23], 0 offen lds               // 000000006604: E0511000 80050029
	s_add_u32 m0, 0, s48                                       // 00000000660C: 807C3080
	s_waitcnt vmcnt(12)                                        // 000000006610: BF8C0F7C
	s_barrier                                                  // 000000006614: BF8A0000
	v_mfma_f32_16x16x32_fp8_fp8 v[80:83], a[64:65], a[0:1], v[80:83]// 000000006618: D3F30050 1D420140
	buffer_load_dwordx4 a[32:35], v42, s[84:87], 0 offen       // 000000006620: E05C1000 8095202A
	v_mfma_f32_16x16x32_fp8_fp8 v[80:83], a[66:67], a[2:3], v[80:83]// 000000006628: D3F30050 1D420542
	v_mfma_f32_16x16x32_fp8_fp8 v[80:83], a[68:69], a[4:5], v[80:83]// 000000006630: D3F30050 1D420944
	ds_read_b128 a[16:19], v2 offset:4224                      // 000000006638: DBFE1080 10000002
	ds_read_b128 a[20:23], v2 offset:4288                      // 000000006640: DBFE10C0 14000002
	v_mfma_f32_16x16x32_fp8_fp8 v[80:83], a[70:71], a[6:7], v[80:83]// 000000006648: D3F30050 1D420D46
	v_mfma_f32_16x16x32_fp8_fp8 v[88:91], a[72:73], a[0:1], v[88:91]// 000000006650: D3F30058 1D620148
	buffer_load_dwordx4 a[36:39], v42, s[84:87], 0 offen offset:1024// 000000006658: E05C1400 8095242A
	v_mfma_f32_16x16x32_fp8_fp8 v[88:91], a[74:75], a[2:3], v[88:91]// 000000006660: D3F30058 1D62054A
	v_mfma_f32_16x16x32_fp8_fp8 v[88:91], a[76:77], a[4:5], v[88:91]// 000000006668: D3F30058 1D62094C
	ds_read_b128 a[24:27], v2 offset:4736                      // 000000006670: DBFE1280 18000002
	ds_read_b128 a[28:31], v2 offset:4800                      // 000000006678: DBFE12C0 1C000002
	v_mfma_f32_16x16x32_fp8_fp8 v[88:91], a[78:79], a[6:7], v[88:91]// 000000006680: D3F30058 1D620D4E
	v_mfma_f32_16x16x32_fp8_fp8 v[96:99], a[80:81], a[0:1], v[96:99]// 000000006688: D3F30060 1D820150
	buffer_load_dwordx4 a[40:43], v43, s[84:87], 0 offen       // 000000006690: E05C1000 8095282B
	v_mfma_f32_16x16x32_fp8_fp8 v[96:99], a[82:83], a[2:3], v[96:99]// 000000006698: D3F30060 1D820552
	v_mfma_f32_16x16x32_fp8_fp8 v[96:99], a[84:85], a[4:5], v[96:99]// 0000000066A0: D3F30060 1D820954
	v_mfma_f32_16x16x32_fp8_fp8 v[96:99], a[86:87], a[6:7], v[96:99]// 0000000066A8: D3F30060 1D820D56
	v_mfma_f32_16x16x32_fp8_fp8 v[104:107], a[88:89], a[0:1], v[104:107]// 0000000066B0: D3F30068 1DA20158
	buffer_load_dwordx4 a[44:47], v43, s[84:87], 0 offen offset:1024// 0000000066B8: E05C1400 80952C2B
	v_mfma_f32_16x16x32_fp8_fp8 v[104:107], a[90:91], a[2:3], v[104:107]// 0000000066C0: D3F30068 1DA2055A
	v_mfma_f32_16x16x32_fp8_fp8 v[104:107], a[92:93], a[4:5], v[104:107]// 0000000066C8: D3F30068 1DA2095C
	v_mfma_f32_16x16x32_fp8_fp8 v[104:107], a[94:95], a[6:7], v[104:107]// 0000000066D0: D3F30068 1DA20D5E
	v_mfma_f32_16x16x32_fp8_fp8 v[84:87], a[64:65], a[8:9], v[84:87]// 0000000066D8: D3F30054 1D521140
	buffer_load_dwordx4 a[48:51], v44, s[84:87], 0 offen       // 0000000066E0: E05C1000 8095302C
	v_mfma_f32_16x16x32_fp8_fp8 v[84:87], a[66:67], a[10:11], v[84:87]// 0000000066E8: D3F30054 1D521542
	v_mfma_f32_16x16x32_fp8_fp8 v[84:87], a[68:69], a[12:13], v[84:87]// 0000000066F0: D3F30054 1D521944
	v_mfma_f32_16x16x32_fp8_fp8 v[84:87], a[70:71], a[14:15], v[84:87]// 0000000066F8: D3F30054 1D521D46
	v_mfma_f32_16x16x32_fp8_fp8 v[92:95], a[72:73], a[8:9], v[92:95]// 000000006700: D3F3005C 1D721148
	buffer_load_dwordx4 a[52:55], v44, s[84:87], 0 offen offset:1024// 000000006708: E05C1400 8095342C
	v_mfma_f32_16x16x32_fp8_fp8 v[92:95], a[74:75], a[10:11], v[92:95]// 000000006710: D3F3005C 1D72154A
	v_mfma_f32_16x16x32_fp8_fp8 v[92:95], a[76:77], a[12:13], v[92:95]// 000000006718: D3F3005C 1D72194C
	v_mfma_f32_16x16x32_fp8_fp8 v[92:95], a[78:79], a[14:15], v[92:95]// 000000006720: D3F3005C 1D721D4E
	v_mfma_f32_16x16x32_fp8_fp8 v[100:103], a[80:81], a[8:9], v[100:103]// 000000006728: D3F30064 1D921150
	buffer_load_dwordx4 a[56:59], v45, s[84:87], 0 offen       // 000000006730: E05C1000 8095382D
	s_add_u32 s60, 0x180, s80                                  // 000000006738: 803C50FF 00000180
	s_cmp_lt_u32 s60, s81                                      // 000000006740: BF0A513C
	s_cselect_b32 s57, s57, 0                                  // 000000006744: 85398039
	v_mfma_f32_16x16x32_fp8_fp8 v[100:103], a[82:83], a[10:11], v[100:103]// 000000006748: D3F30064 1D921552
	s_add_u32 s60, 0x100, s80                                  // 000000006750: 803C50FF 00000100
	s_cmp_lt_u32 s60, s81                                      // 000000006758: BF0A513C
	s_cselect_b32 s58, s58, 0                                  // 00000000675C: 853A803A
	v_mfma_f32_16x16x32_fp8_fp8 v[100:103], a[84:85], a[12:13], v[100:103]// 000000006760: D3F30064 1D921954
	s_add_u32 s60, 0x100, s80                                  // 000000006768: 803C50FF 00000100
	s_cmp_lt_u32 s60, s81                                      // 000000006770: BF0A513C
	s_cselect_b32 s83, s83, 0                                  // 000000006774: 85538053
	v_mfma_f32_16x16x32_fp8_fp8 v[100:103], a[86:87], a[14:15], v[100:103]// 000000006778: D3F30064 1D921D56
	s_add_u32 s24, s58, s24                                    // 000000006780: 8018183A
	s_addc_u32 s25, 0, s25                                     // 000000006784: 82191980
	v_mfma_f32_16x16x32_fp8_fp8 v[108:111], a[88:89], a[8:9], v[108:111]// 000000006788: D3F3006C 1DB21158
	buffer_load_dwordx4 a[60:63], v45, s[84:87], 0 offen offset:1024// 000000006790: E05C1400 80953C2D
	s_add_u32 s20, s57, s20                                    // 000000006798: 80141439
	s_addc_u32 s21, 0, s21                                     // 00000000679C: 82151580
	v_mfma_f32_16x16x32_fp8_fp8 v[108:111], a[90:91], a[10:11], v[108:111]// 0000000067A0: D3F3006C 1DB2155A
	s_add_u32 s84, s83, s84                                    // 0000000067A8: 80545453
	s_addc_u32 s85, 0, s85                                     // 0000000067AC: 82555580
	v_mfma_f32_16x16x32_fp8_fp8 v[108:111], a[92:93], a[12:13], v[108:111]// 0000000067B0: D3F3006C 1DB2195C
	v_mfma_f32_16x16x32_fp8_fp8 v[108:111], a[94:95], a[14:15], v[108:111]// 0000000067B8: D3F3006C 1DB21D5E
	s_addk_i32 s80, 0x80                                       // 0000000067C0: B7500080
	s_cmp_lt_i32 s80, s81                                      // 0000000067C4: BF045150
	s_cbranch_scc0 label_1382                                  // 0000000067C8: BF84040C
	s_waitcnt vmcnt(12) lgkmcnt(0)                             // 0000000067CC: BF8C007C
	v_mfma_f32_16x16x32_fp8_fp8 v[48:51], a[96:97], a[16:17], v[48:51]// 0000000067D0: D3F30030 1CC22160
	buffer_load_dwordx4 a[64:67], v42, s[24:27], 0 offen       // 0000000067D8: E05C1000 8086402A
	v_mfma_f32_16x16x32_fp8_fp8 v[48:51], a[98:99], a[18:19], v[48:51]// 0000000067E0: D3F30030 1CC22562
	v_mfma_f32_16x16x32_fp8_fp8 v[48:51], a[100:101], a[20:21], v[48:51]// 0000000067E8: D3F30030 1CC22964
	v_mfma_f32_16x16x32_fp8_fp8 v[48:51], a[102:103], a[22:23], v[48:51]// 0000000067F0: D3F30030 1CC22D66
	v_mfma_f32_16x16x32_fp8_fp8 v[56:59], a[104:105], a[16:17], v[56:59]// 0000000067F8: D3F30038 1CE22168
	buffer_load_dwordx4 a[68:71], v42, s[24:27], 0 offen offset:1024// 000000006800: E05C1400 8086442A
	v_mfma_f32_16x16x32_fp8_fp8 v[56:59], a[106:107], a[18:19], v[56:59]// 000000006808: D3F30038 1CE2256A
	v_mfma_f32_16x16x32_fp8_fp8 v[56:59], a[108:109], a[20:21], v[56:59]// 000000006810: D3F30038 1CE2296C
	v_mfma_f32_16x16x32_fp8_fp8 v[56:59], a[110:111], a[22:23], v[56:59]// 000000006818: D3F30038 1CE22D6E
	v_mfma_f32_16x16x32_fp8_fp8 v[64:67], a[112:113], a[16:17], v[64:67]// 000000006820: D3F30040 1D022170
	buffer_load_dwordx4 a[72:75], v43, s[24:27], 0 offen       // 000000006828: E05C1000 8086482B
	v_mfma_f32_16x16x32_fp8_fp8 v[64:67], a[114:115], a[18:19], v[64:67]// 000000006830: D3F30040 1D022572
	v_mfma_f32_16x16x32_fp8_fp8 v[64:67], a[116:117], a[20:21], v[64:67]// 000000006838: D3F30040 1D022974
	v_mfma_f32_16x16x32_fp8_fp8 v[64:67], a[118:119], a[22:23], v[64:67]// 000000006840: D3F30040 1D022D76
	v_mfma_f32_16x16x32_fp8_fp8 v[72:75], a[120:121], a[16:17], v[72:75]// 000000006848: D3F30048 1D222178
	buffer_load_dwordx4 a[76:79], v43, s[24:27], 0 offen offset:1024// 000000006850: E05C1400 80864C2B
	v_mfma_f32_16x16x32_fp8_fp8 v[72:75], a[122:123], a[18:19], v[72:75]// 000000006858: D3F30048 1D22257A
	v_mfma_f32_16x16x32_fp8_fp8 v[72:75], a[124:125], a[20:21], v[72:75]// 000000006860: D3F30048 1D22297C
	v_mfma_f32_16x16x32_fp8_fp8 v[72:75], a[126:127], a[22:23], v[72:75]// 000000006868: D3F30048 1D222D7E
	v_mfma_f32_16x16x32_fp8_fp8 v[52:55], a[96:97], a[24:25], v[52:55]// 000000006870: D3F30034 1CD23160
	buffer_load_dwordx4 a[80:83], v44, s[24:27], 0 offen       // 000000006878: E05C1000 8086502C
	v_mfma_f32_16x16x32_fp8_fp8 v[52:55], a[98:99], a[26:27], v[52:55]// 000000006880: D3F30034 1CD23562
	v_mfma_f32_16x16x32_fp8_fp8 v[52:55], a[100:101], a[28:29], v[52:55]// 000000006888: D3F30034 1CD23964
	v_mfma_f32_16x16x32_fp8_fp8 v[52:55], a[102:103], a[30:31], v[52:55]// 000000006890: D3F30034 1CD23D66
	v_mfma_f32_16x16x32_fp8_fp8 v[60:63], a[104:105], a[24:25], v[60:63]// 000000006898: D3F3003C 1CF23168
	buffer_load_dwordx4 a[84:87], v44, s[24:27], 0 offen offset:1024// 0000000068A0: E05C1400 8086542C
	v_mfma_f32_16x16x32_fp8_fp8 v[60:63], a[106:107], a[26:27], v[60:63]// 0000000068A8: D3F3003C 1CF2356A
	v_mfma_f32_16x16x32_fp8_fp8 v[60:63], a[108:109], a[28:29], v[60:63]// 0000000068B0: D3F3003C 1CF2396C
	v_mfma_f32_16x16x32_fp8_fp8 v[60:63], a[110:111], a[30:31], v[60:63]// 0000000068B8: D3F3003C 1CF23D6E
	v_mfma_f32_16x16x32_fp8_fp8 v[68:71], a[112:113], a[24:25], v[68:71]// 0000000068C0: D3F30044 1D123170
	buffer_load_dwordx4 a[88:91], v45, s[24:27], 0 offen       // 0000000068C8: E05C1000 8086582D
	v_mfma_f32_16x16x32_fp8_fp8 v[68:71], a[114:115], a[26:27], v[68:71]// 0000000068D0: D3F30044 1D123572
	v_mfma_f32_16x16x32_fp8_fp8 v[68:71], a[116:117], a[28:29], v[68:71]// 0000000068D8: D3F30044 1D123974
	v_mfma_f32_16x16x32_fp8_fp8 v[68:71], a[118:119], a[30:31], v[68:71]// 0000000068E0: D3F30044 1D123D76
	v_mfma_f32_16x16x32_fp8_fp8 v[76:79], a[120:121], a[24:25], v[76:79]// 0000000068E8: D3F3004C 1D323178
	buffer_load_dwordx4 a[92:95], v45, s[24:27], 0 offen offset:1024// 0000000068F0: E05C1400 80865C2D
	buffer_load_dword v38, s[20:23], 0 offen lds               // 0000000068F8: E0511000 80050026
	s_add_u32 m0, 0x100, s48                                   // 000000006900: 807C30FF 00000100
	v_mfma_f32_16x16x32_fp8_fp8 v[76:79], a[122:123], a[26:27], v[76:79]// 000000006908: D3F3004C 1D32357A
	v_mfma_f32_16x16x32_fp8_fp8 v[76:79], a[124:125], a[28:29], v[76:79]// 000000006910: D3F3004C 1D32397C
	buffer_load_dword v39, s[20:23], 0 offen lds               // 000000006918: E0511000 80050027
	s_add_u32 m0, 0x200, s48                                   // 000000006920: 807C30FF 00000200
	v_mfma_f32_16x16x32_fp8_fp8 v[76:79], a[126:127], a[30:31], v[76:79]// 000000006928: D3F3004C 1D323D7E
	buffer_load_dword v40, s[20:23], 0 offen lds               // 000000006930: E0511000 80050028
	s_add_u32 m0, 0x300, s48                                   // 000000006938: 807C30FF 00000300
	buffer_load_dword v41, s[20:23], 0 offen lds               // 000000006940: E0511000 80050029
	s_add_u32 m0, 0, s49                                       // 000000006948: 807C3180
	s_waitcnt vmcnt(12)                                        // 00000000694C: BF8C0F7C
	s_barrier                                                  // 000000006950: BF8A0000
	v_mfma_f32_16x16x32_fp8_fp8 v[80:83], a[32:33], a[16:17], v[80:83]// 000000006954: D3F30050 1D422120
	buffer_load_dwordx4 a[96:99], v42, s[84:87], 0 offen       // 00000000695C: E05C1000 8095602A
	v_mfma_f32_16x16x32_fp8_fp8 v[80:83], a[34:35], a[18:19], v[80:83]// 000000006964: D3F30050 1D422522
	v_mfma_f32_16x16x32_fp8_fp8 v[80:83], a[36:37], a[20:21], v[80:83]// 00000000696C: D3F30050 1D422924
	ds_read_b128 a[0:3], v2 offset:8448                        // 000000006974: DBFE2100 00000002
	ds_read_b128 a[4:7], v2 offset:8512                        // 00000000697C: DBFE2140 04000002
	v_mfma_f32_16x16x32_fp8_fp8 v[80:83], a[38:39], a[22:23], v[80:83]// 000000006984: D3F30050 1D422D26
	v_mfma_f32_16x16x32_fp8_fp8 v[88:91], a[40:41], a[16:17], v[88:91]// 00000000698C: D3F30058 1D622128
	buffer_load_dwordx4 a[100:103], v42, s[84:87], 0 offen offset:1024// 000000006994: E05C1400 8095642A
	v_mfma_f32_16x16x32_fp8_fp8 v[88:91], a[42:43], a[18:19], v[88:91]// 00000000699C: D3F30058 1D62252A
	v_mfma_f32_16x16x32_fp8_fp8 v[88:91], a[44:45], a[20:21], v[88:91]// 0000000069A4: D3F30058 1D62292C
	ds_read_b128 a[8:11], v2 offset:8960                       // 0000000069AC: DBFE2300 08000002
	ds_read_b128 a[12:15], v2 offset:9024                      // 0000000069B4: DBFE2340 0C000002
	v_mfma_f32_16x16x32_fp8_fp8 v[88:91], a[46:47], a[22:23], v[88:91]// 0000000069BC: D3F30058 1D622D2E
	v_mfma_f32_16x16x32_fp8_fp8 v[96:99], a[48:49], a[16:17], v[96:99]// 0000000069C4: D3F30060 1D822130
	buffer_load_dwordx4 a[104:107], v43, s[84:87], 0 offen     // 0000000069CC: E05C1000 8095682B
	v_mfma_f32_16x16x32_fp8_fp8 v[96:99], a[50:51], a[18:19], v[96:99]// 0000000069D4: D3F30060 1D822532
	v_mfma_f32_16x16x32_fp8_fp8 v[96:99], a[52:53], a[20:21], v[96:99]// 0000000069DC: D3F30060 1D822934
	v_mfma_f32_16x16x32_fp8_fp8 v[96:99], a[54:55], a[22:23], v[96:99]// 0000000069E4: D3F30060 1D822D36
	v_mfma_f32_16x16x32_fp8_fp8 v[104:107], a[56:57], a[16:17], v[104:107]// 0000000069EC: D3F30068 1DA22138
	buffer_load_dwordx4 a[108:111], v43, s[84:87], 0 offen offset:1024// 0000000069F4: E05C1400 80956C2B
	v_mfma_f32_16x16x32_fp8_fp8 v[104:107], a[58:59], a[18:19], v[104:107]// 0000000069FC: D3F30068 1DA2253A
	v_mfma_f32_16x16x32_fp8_fp8 v[104:107], a[60:61], a[20:21], v[104:107]// 000000006A04: D3F30068 1DA2293C
	v_mfma_f32_16x16x32_fp8_fp8 v[104:107], a[62:63], a[22:23], v[104:107]// 000000006A0C: D3F30068 1DA22D3E
	v_mfma_f32_16x16x32_fp8_fp8 v[84:87], a[32:33], a[24:25], v[84:87]// 000000006A14: D3F30054 1D523120
	buffer_load_dwordx4 a[112:115], v44, s[84:87], 0 offen     // 000000006A1C: E05C1000 8095702C
	v_mfma_f32_16x16x32_fp8_fp8 v[84:87], a[34:35], a[26:27], v[84:87]// 000000006A24: D3F30054 1D523522
	v_mfma_f32_16x16x32_fp8_fp8 v[84:87], a[36:37], a[28:29], v[84:87]// 000000006A2C: D3F30054 1D523924
	v_mfma_f32_16x16x32_fp8_fp8 v[84:87], a[38:39], a[30:31], v[84:87]// 000000006A34: D3F30054 1D523D26
	v_mfma_f32_16x16x32_fp8_fp8 v[92:95], a[40:41], a[24:25], v[92:95]// 000000006A3C: D3F3005C 1D723128
	buffer_load_dwordx4 a[116:119], v44, s[84:87], 0 offen offset:1024// 000000006A44: E05C1400 8095742C
	v_mfma_f32_16x16x32_fp8_fp8 v[92:95], a[42:43], a[26:27], v[92:95]// 000000006A4C: D3F3005C 1D72352A
	v_mfma_f32_16x16x32_fp8_fp8 v[92:95], a[44:45], a[28:29], v[92:95]// 000000006A54: D3F3005C 1D72392C
	v_mfma_f32_16x16x32_fp8_fp8 v[92:95], a[46:47], a[30:31], v[92:95]// 000000006A5C: D3F3005C 1D723D2E
	v_mfma_f32_16x16x32_fp8_fp8 v[100:103], a[48:49], a[24:25], v[100:103]// 000000006A64: D3F30064 1D923130
	buffer_load_dwordx4 a[120:123], v45, s[84:87], 0 offen     // 000000006A6C: E05C1000 8095782D
	s_add_u32 s60, 0x180, s80                                  // 000000006A74: 803C50FF 00000180
	s_cmp_lt_u32 s60, s81                                      // 000000006A7C: BF0A513C
	s_cselect_b32 s57, s57, 0                                  // 000000006A80: 85398039
	v_mfma_f32_16x16x32_fp8_fp8 v[100:103], a[50:51], a[26:27], v[100:103]// 000000006A84: D3F30064 1D923532
	s_add_u32 s60, 0x100, s80                                  // 000000006A8C: 803C50FF 00000100
	s_cmp_lt_u32 s60, s81                                      // 000000006A94: BF0A513C
	s_cselect_b32 s58, s58, 0                                  // 000000006A98: 853A803A
	v_mfma_f32_16x16x32_fp8_fp8 v[100:103], a[52:53], a[28:29], v[100:103]// 000000006A9C: D3F30064 1D923934
	s_add_u32 s60, 0x100, s80                                  // 000000006AA4: 803C50FF 00000100
	s_cmp_lt_u32 s60, s81                                      // 000000006AAC: BF0A513C
	s_cselect_b32 s83, s83, 0                                  // 000000006AB0: 85538053
	v_mfma_f32_16x16x32_fp8_fp8 v[100:103], a[54:55], a[30:31], v[100:103]// 000000006AB4: D3F30064 1D923D36
	s_add_u32 s24, s58, s24                                    // 000000006ABC: 8018183A
	s_addc_u32 s25, 0, s25                                     // 000000006AC0: 82191980
	v_mfma_f32_16x16x32_fp8_fp8 v[108:111], a[56:57], a[24:25], v[108:111]// 000000006AC4: D3F3006C 1DB23138
	buffer_load_dwordx4 a[124:127], v45, s[84:87], 0 offen offset:1024// 000000006ACC: E05C1400 80957C2D
	s_add_u32 s20, s57, s20                                    // 000000006AD4: 80141439
	s_addc_u32 s21, 0, s21                                     // 000000006AD8: 82151580
	v_mfma_f32_16x16x32_fp8_fp8 v[108:111], a[58:59], a[26:27], v[108:111]// 000000006ADC: D3F3006C 1DB2353A
	s_add_u32 s84, s83, s84                                    // 000000006AE4: 80545453
	s_addc_u32 s85, 0, s85                                     // 000000006AE8: 82555580
	v_mfma_f32_16x16x32_fp8_fp8 v[108:111], a[60:61], a[28:29], v[108:111]// 000000006AEC: D3F3006C 1DB2393C
	v_mfma_f32_16x16x32_fp8_fp8 v[108:111], a[62:63], a[30:31], v[108:111]// 000000006AF4: D3F3006C 1DB23D3E
	s_addk_i32 s80, 0x80                                       // 000000006AFC: B7500080
	s_cmp_lt_i32 s80, s81                                      // 000000006B00: BF045150
	s_cbranch_scc0 label_1382                                  // 000000006B04: BF84033D
	s_waitcnt vmcnt(12) lgkmcnt(0)                             // 000000006B08: BF8C007C
	v_mfma_f32_16x16x32_fp8_fp8 v[48:51], a[64:65], a[0:1], v[48:51]// 000000006B0C: D3F30030 1CC20140
	buffer_load_dwordx4 a[32:35], v42, s[24:27], 0 offen       // 000000006B14: E05C1000 8086202A
	v_mfma_f32_16x16x32_fp8_fp8 v[48:51], a[66:67], a[2:3], v[48:51]// 000000006B1C: D3F30030 1CC20542
	v_mfma_f32_16x16x32_fp8_fp8 v[48:51], a[68:69], a[4:5], v[48:51]// 000000006B24: D3F30030 1CC20944
	v_mfma_f32_16x16x32_fp8_fp8 v[48:51], a[70:71], a[6:7], v[48:51]// 000000006B2C: D3F30030 1CC20D46
	v_mfma_f32_16x16x32_fp8_fp8 v[56:59], a[72:73], a[0:1], v[56:59]// 000000006B34: D3F30038 1CE20148
	buffer_load_dwordx4 a[36:39], v42, s[24:27], 0 offen offset:1024// 000000006B3C: E05C1400 8086242A
	v_mfma_f32_16x16x32_fp8_fp8 v[56:59], a[74:75], a[2:3], v[56:59]// 000000006B44: D3F30038 1CE2054A
	v_mfma_f32_16x16x32_fp8_fp8 v[56:59], a[76:77], a[4:5], v[56:59]// 000000006B4C: D3F30038 1CE2094C
	v_mfma_f32_16x16x32_fp8_fp8 v[56:59], a[78:79], a[6:7], v[56:59]// 000000006B54: D3F30038 1CE20D4E
	v_mfma_f32_16x16x32_fp8_fp8 v[64:67], a[80:81], a[0:1], v[64:67]// 000000006B5C: D3F30040 1D020150
	buffer_load_dwordx4 a[40:43], v43, s[24:27], 0 offen       // 000000006B64: E05C1000 8086282B
	v_mfma_f32_16x16x32_fp8_fp8 v[64:67], a[82:83], a[2:3], v[64:67]// 000000006B6C: D3F30040 1D020552
	v_mfma_f32_16x16x32_fp8_fp8 v[64:67], a[84:85], a[4:5], v[64:67]// 000000006B74: D3F30040 1D020954
	v_mfma_f32_16x16x32_fp8_fp8 v[64:67], a[86:87], a[6:7], v[64:67]// 000000006B7C: D3F30040 1D020D56
	v_mfma_f32_16x16x32_fp8_fp8 v[72:75], a[88:89], a[0:1], v[72:75]// 000000006B84: D3F30048 1D220158
	buffer_load_dwordx4 a[44:47], v43, s[24:27], 0 offen offset:1024// 000000006B8C: E05C1400 80862C2B
	v_mfma_f32_16x16x32_fp8_fp8 v[72:75], a[90:91], a[2:3], v[72:75]// 000000006B94: D3F30048 1D22055A
	v_mfma_f32_16x16x32_fp8_fp8 v[72:75], a[92:93], a[4:5], v[72:75]// 000000006B9C: D3F30048 1D22095C
	v_mfma_f32_16x16x32_fp8_fp8 v[72:75], a[94:95], a[6:7], v[72:75]// 000000006BA4: D3F30048 1D220D5E
	v_mfma_f32_16x16x32_fp8_fp8 v[52:55], a[64:65], a[8:9], v[52:55]// 000000006BAC: D3F30034 1CD21140
	buffer_load_dwordx4 a[48:51], v44, s[24:27], 0 offen       // 000000006BB4: E05C1000 8086302C
	v_mfma_f32_16x16x32_fp8_fp8 v[52:55], a[66:67], a[10:11], v[52:55]// 000000006BBC: D3F30034 1CD21542
	v_mfma_f32_16x16x32_fp8_fp8 v[52:55], a[68:69], a[12:13], v[52:55]// 000000006BC4: D3F30034 1CD21944
	v_mfma_f32_16x16x32_fp8_fp8 v[52:55], a[70:71], a[14:15], v[52:55]// 000000006BCC: D3F30034 1CD21D46
	v_mfma_f32_16x16x32_fp8_fp8 v[60:63], a[72:73], a[8:9], v[60:63]// 000000006BD4: D3F3003C 1CF21148
	buffer_load_dwordx4 a[52:55], v44, s[24:27], 0 offen offset:1024// 000000006BDC: E05C1400 8086342C
	v_mfma_f32_16x16x32_fp8_fp8 v[60:63], a[74:75], a[10:11], v[60:63]// 000000006BE4: D3F3003C 1CF2154A
	v_mfma_f32_16x16x32_fp8_fp8 v[60:63], a[76:77], a[12:13], v[60:63]// 000000006BEC: D3F3003C 1CF2194C
	v_mfma_f32_16x16x32_fp8_fp8 v[60:63], a[78:79], a[14:15], v[60:63]// 000000006BF4: D3F3003C 1CF21D4E
	v_mfma_f32_16x16x32_fp8_fp8 v[68:71], a[80:81], a[8:9], v[68:71]// 000000006BFC: D3F30044 1D121150
	buffer_load_dwordx4 a[56:59], v45, s[24:27], 0 offen       // 000000006C04: E05C1000 8086382D
	v_mfma_f32_16x16x32_fp8_fp8 v[68:71], a[82:83], a[10:11], v[68:71]// 000000006C0C: D3F30044 1D121552
	v_mfma_f32_16x16x32_fp8_fp8 v[68:71], a[84:85], a[12:13], v[68:71]// 000000006C14: D3F30044 1D121954
	v_mfma_f32_16x16x32_fp8_fp8 v[68:71], a[86:87], a[14:15], v[68:71]// 000000006C1C: D3F30044 1D121D56
	v_mfma_f32_16x16x32_fp8_fp8 v[76:79], a[88:89], a[8:9], v[76:79]// 000000006C24: D3F3004C 1D321158
	buffer_load_dwordx4 a[60:63], v45, s[24:27], 0 offen offset:1024// 000000006C2C: E05C1400 80863C2D
	buffer_load_dword v38, s[20:23], 0 offen lds               // 000000006C34: E0511000 80050026
	s_add_u32 m0, 0x100, s49                                   // 000000006C3C: 807C31FF 00000100
	v_mfma_f32_16x16x32_fp8_fp8 v[76:79], a[90:91], a[10:11], v[76:79]// 000000006C44: D3F3004C 1D32155A
	v_mfma_f32_16x16x32_fp8_fp8 v[76:79], a[92:93], a[12:13], v[76:79]// 000000006C4C: D3F3004C 1D32195C
	buffer_load_dword v39, s[20:23], 0 offen lds               // 000000006C54: E0511000 80050027
	s_add_u32 m0, 0x200, s49                                   // 000000006C5C: 807C31FF 00000200
	v_mfma_f32_16x16x32_fp8_fp8 v[76:79], a[94:95], a[14:15], v[76:79]// 000000006C64: D3F3004C 1D321D5E
	buffer_load_dword v40, s[20:23], 0 offen lds               // 000000006C6C: E0511000 80050028
	s_add_u32 m0, 0x300, s49                                   // 000000006C74: 807C31FF 00000300
	buffer_load_dword v41, s[20:23], 0 offen lds               // 000000006C7C: E0511000 80050029
	s_add_u32 m0, 0, s50                                       // 000000006C84: 807C3280
	s_waitcnt vmcnt(12)                                        // 000000006C88: BF8C0F7C
	s_barrier                                                  // 000000006C8C: BF8A0000
	v_mfma_f32_16x16x32_fp8_fp8 v[80:83], a[96:97], a[0:1], v[80:83]// 000000006C90: D3F30050 1D420160
	buffer_load_dwordx4 a[64:67], v42, s[84:87], 0 offen       // 000000006C98: E05C1000 8095402A
	v_mfma_f32_16x16x32_fp8_fp8 v[80:83], a[98:99], a[2:3], v[80:83]// 000000006CA0: D3F30050 1D420562
	v_mfma_f32_16x16x32_fp8_fp8 v[80:83], a[100:101], a[4:5], v[80:83]// 000000006CA8: D3F30050 1D420964
	ds_read_b128 a[16:19], v2                                  // 000000006CB0: DBFE0000 10000002
	ds_read_b128 a[20:23], v2 offset:64                        // 000000006CB8: DBFE0040 14000002
	v_mfma_f32_16x16x32_fp8_fp8 v[80:83], a[102:103], a[6:7], v[80:83]// 000000006CC0: D3F30050 1D420D66
	v_mfma_f32_16x16x32_fp8_fp8 v[88:91], a[104:105], a[0:1], v[88:91]// 000000006CC8: D3F30058 1D620168
	buffer_load_dwordx4 a[68:71], v42, s[84:87], 0 offen offset:1024// 000000006CD0: E05C1400 8095442A
	v_mfma_f32_16x16x32_fp8_fp8 v[88:91], a[106:107], a[2:3], v[88:91]// 000000006CD8: D3F30058 1D62056A
	v_mfma_f32_16x16x32_fp8_fp8 v[88:91], a[108:109], a[4:5], v[88:91]// 000000006CE0: D3F30058 1D62096C
	ds_read_b128 a[24:27], v2 offset:512                       // 000000006CE8: DBFE0200 18000002
	ds_read_b128 a[28:31], v2 offset:576                       // 000000006CF0: DBFE0240 1C000002
	v_mfma_f32_16x16x32_fp8_fp8 v[88:91], a[110:111], a[6:7], v[88:91]// 000000006CF8: D3F30058 1D620D6E
	v_mfma_f32_16x16x32_fp8_fp8 v[96:99], a[112:113], a[0:1], v[96:99]// 000000006D00: D3F30060 1D820170
	buffer_load_dwordx4 a[72:75], v43, s[84:87], 0 offen       // 000000006D08: E05C1000 8095482B
	v_mfma_f32_16x16x32_fp8_fp8 v[96:99], a[114:115], a[2:3], v[96:99]// 000000006D10: D3F30060 1D820572
	v_mfma_f32_16x16x32_fp8_fp8 v[96:99], a[116:117], a[4:5], v[96:99]// 000000006D18: D3F30060 1D820974
	v_mfma_f32_16x16x32_fp8_fp8 v[96:99], a[118:119], a[6:7], v[96:99]// 000000006D20: D3F30060 1D820D76
	v_mfma_f32_16x16x32_fp8_fp8 v[104:107], a[120:121], a[0:1], v[104:107]// 000000006D28: D3F30068 1DA20178
	buffer_load_dwordx4 a[76:79], v43, s[84:87], 0 offen offset:1024// 000000006D30: E05C1400 80954C2B
	v_mfma_f32_16x16x32_fp8_fp8 v[104:107], a[122:123], a[2:3], v[104:107]// 000000006D38: D3F30068 1DA2057A
	v_mfma_f32_16x16x32_fp8_fp8 v[104:107], a[124:125], a[4:5], v[104:107]// 000000006D40: D3F30068 1DA2097C
	v_mfma_f32_16x16x32_fp8_fp8 v[104:107], a[126:127], a[6:7], v[104:107]// 000000006D48: D3F30068 1DA20D7E
	v_mfma_f32_16x16x32_fp8_fp8 v[84:87], a[96:97], a[8:9], v[84:87]// 000000006D50: D3F30054 1D521160
	buffer_load_dwordx4 a[80:83], v44, s[84:87], 0 offen       // 000000006D58: E05C1000 8095502C
	v_mfma_f32_16x16x32_fp8_fp8 v[84:87], a[98:99], a[10:11], v[84:87]// 000000006D60: D3F30054 1D521562
	v_mfma_f32_16x16x32_fp8_fp8 v[84:87], a[100:101], a[12:13], v[84:87]// 000000006D68: D3F30054 1D521964
	v_mfma_f32_16x16x32_fp8_fp8 v[84:87], a[102:103], a[14:15], v[84:87]// 000000006D70: D3F30054 1D521D66
	v_mfma_f32_16x16x32_fp8_fp8 v[92:95], a[104:105], a[8:9], v[92:95]// 000000006D78: D3F3005C 1D721168
	buffer_load_dwordx4 a[84:87], v44, s[84:87], 0 offen offset:1024// 000000006D80: E05C1400 8095542C
	v_mfma_f32_16x16x32_fp8_fp8 v[92:95], a[106:107], a[10:11], v[92:95]// 000000006D88: D3F3005C 1D72156A
	v_mfma_f32_16x16x32_fp8_fp8 v[92:95], a[108:109], a[12:13], v[92:95]// 000000006D90: D3F3005C 1D72196C
	v_mfma_f32_16x16x32_fp8_fp8 v[92:95], a[110:111], a[14:15], v[92:95]// 000000006D98: D3F3005C 1D721D6E
	v_mfma_f32_16x16x32_fp8_fp8 v[100:103], a[112:113], a[8:9], v[100:103]// 000000006DA0: D3F30064 1D921170
	buffer_load_dwordx4 a[88:91], v45, s[84:87], 0 offen       // 000000006DA8: E05C1000 8095582D
	s_add_u32 s60, 0x180, s80                                  // 000000006DB0: 803C50FF 00000180
	s_cmp_lt_u32 s60, s81                                      // 000000006DB8: BF0A513C
	s_cselect_b32 s57, s57, 0                                  // 000000006DBC: 85398039
	v_mfma_f32_16x16x32_fp8_fp8 v[100:103], a[114:115], a[10:11], v[100:103]// 000000006DC0: D3F30064 1D921572
	s_add_u32 s60, 0x100, s80                                  // 000000006DC8: 803C50FF 00000100
	s_cmp_lt_u32 s60, s81                                      // 000000006DD0: BF0A513C
	s_cselect_b32 s58, s58, 0                                  // 000000006DD4: 853A803A
	v_mfma_f32_16x16x32_fp8_fp8 v[100:103], a[116:117], a[12:13], v[100:103]// 000000006DD8: D3F30064 1D921974
	s_add_u32 s60, 0x100, s80                                  // 000000006DE0: 803C50FF 00000100
	s_cmp_lt_u32 s60, s81                                      // 000000006DE8: BF0A513C
	s_cselect_b32 s83, s83, 0                                  // 000000006DEC: 85538053
	v_mfma_f32_16x16x32_fp8_fp8 v[100:103], a[118:119], a[14:15], v[100:103]// 000000006DF0: D3F30064 1D921D76
	s_add_u32 s24, s58, s24                                    // 000000006DF8: 8018183A
	s_addc_u32 s25, 0, s25                                     // 000000006DFC: 82191980
	v_mfma_f32_16x16x32_fp8_fp8 v[108:111], a[120:121], a[8:9], v[108:111]// 000000006E00: D3F3006C 1DB21178
	buffer_load_dwordx4 a[92:95], v45, s[84:87], 0 offen offset:1024// 000000006E08: E05C1400 80955C2D
	s_add_u32 s20, s57, s20                                    // 000000006E10: 80141439
	s_addc_u32 s21, 0, s21                                     // 000000006E14: 82151580
	v_mfma_f32_16x16x32_fp8_fp8 v[108:111], a[122:123], a[10:11], v[108:111]// 000000006E18: D3F3006C 1DB2157A
	s_add_u32 s84, s83, s84                                    // 000000006E20: 80545453
	s_addc_u32 s85, 0, s85                                     // 000000006E24: 82555580
	v_mfma_f32_16x16x32_fp8_fp8 v[108:111], a[124:125], a[12:13], v[108:111]// 000000006E28: D3F3006C 1DB2197C
	v_mfma_f32_16x16x32_fp8_fp8 v[108:111], a[126:127], a[14:15], v[108:111]// 000000006E30: D3F3006C 1DB21D7E
	s_addk_i32 s80, 0x80                                       // 000000006E38: B7500080
	s_cmp_lt_i32 s80, s81                                      // 000000006E3C: BF045150
	s_cbranch_scc0 label_1382                                  // 000000006E40: BF84026E
	s_waitcnt vmcnt(12) lgkmcnt(0)                             // 000000006E44: BF8C007C
	v_mfma_f32_16x16x32_fp8_fp8 v[48:51], a[32:33], a[16:17], v[48:51]// 000000006E48: D3F30030 1CC22120
	buffer_load_dwordx4 a[96:99], v42, s[24:27], 0 offen       // 000000006E50: E05C1000 8086602A
	v_mfma_f32_16x16x32_fp8_fp8 v[48:51], a[34:35], a[18:19], v[48:51]// 000000006E58: D3F30030 1CC22522
	v_mfma_f32_16x16x32_fp8_fp8 v[48:51], a[36:37], a[20:21], v[48:51]// 000000006E60: D3F30030 1CC22924
	v_mfma_f32_16x16x32_fp8_fp8 v[48:51], a[38:39], a[22:23], v[48:51]// 000000006E68: D3F30030 1CC22D26
	v_mfma_f32_16x16x32_fp8_fp8 v[56:59], a[40:41], a[16:17], v[56:59]// 000000006E70: D3F30038 1CE22128
	buffer_load_dwordx4 a[100:103], v42, s[24:27], 0 offen offset:1024// 000000006E78: E05C1400 8086642A
	v_mfma_f32_16x16x32_fp8_fp8 v[56:59], a[42:43], a[18:19], v[56:59]// 000000006E80: D3F30038 1CE2252A
	v_mfma_f32_16x16x32_fp8_fp8 v[56:59], a[44:45], a[20:21], v[56:59]// 000000006E88: D3F30038 1CE2292C
	v_mfma_f32_16x16x32_fp8_fp8 v[56:59], a[46:47], a[22:23], v[56:59]// 000000006E90: D3F30038 1CE22D2E
	v_mfma_f32_16x16x32_fp8_fp8 v[64:67], a[48:49], a[16:17], v[64:67]// 000000006E98: D3F30040 1D022130
	buffer_load_dwordx4 a[104:107], v43, s[24:27], 0 offen     // 000000006EA0: E05C1000 8086682B
	v_mfma_f32_16x16x32_fp8_fp8 v[64:67], a[50:51], a[18:19], v[64:67]// 000000006EA8: D3F30040 1D022532
	v_mfma_f32_16x16x32_fp8_fp8 v[64:67], a[52:53], a[20:21], v[64:67]// 000000006EB0: D3F30040 1D022934
	v_mfma_f32_16x16x32_fp8_fp8 v[64:67], a[54:55], a[22:23], v[64:67]// 000000006EB8: D3F30040 1D022D36
	v_mfma_f32_16x16x32_fp8_fp8 v[72:75], a[56:57], a[16:17], v[72:75]// 000000006EC0: D3F30048 1D222138
	buffer_load_dwordx4 a[108:111], v43, s[24:27], 0 offen offset:1024// 000000006EC8: E05C1400 80866C2B
	v_mfma_f32_16x16x32_fp8_fp8 v[72:75], a[58:59], a[18:19], v[72:75]// 000000006ED0: D3F30048 1D22253A
	v_mfma_f32_16x16x32_fp8_fp8 v[72:75], a[60:61], a[20:21], v[72:75]// 000000006ED8: D3F30048 1D22293C
	v_mfma_f32_16x16x32_fp8_fp8 v[72:75], a[62:63], a[22:23], v[72:75]// 000000006EE0: D3F30048 1D222D3E
	v_mfma_f32_16x16x32_fp8_fp8 v[52:55], a[32:33], a[24:25], v[52:55]// 000000006EE8: D3F30034 1CD23120
	buffer_load_dwordx4 a[112:115], v44, s[24:27], 0 offen     // 000000006EF0: E05C1000 8086702C
	v_mfma_f32_16x16x32_fp8_fp8 v[52:55], a[34:35], a[26:27], v[52:55]// 000000006EF8: D3F30034 1CD23522
	v_mfma_f32_16x16x32_fp8_fp8 v[52:55], a[36:37], a[28:29], v[52:55]// 000000006F00: D3F30034 1CD23924
	v_mfma_f32_16x16x32_fp8_fp8 v[52:55], a[38:39], a[30:31], v[52:55]// 000000006F08: D3F30034 1CD23D26
	v_mfma_f32_16x16x32_fp8_fp8 v[60:63], a[40:41], a[24:25], v[60:63]// 000000006F10: D3F3003C 1CF23128
	buffer_load_dwordx4 a[116:119], v44, s[24:27], 0 offen offset:1024// 000000006F18: E05C1400 8086742C
	v_mfma_f32_16x16x32_fp8_fp8 v[60:63], a[42:43], a[26:27], v[60:63]// 000000006F20: D3F3003C 1CF2352A
	v_mfma_f32_16x16x32_fp8_fp8 v[60:63], a[44:45], a[28:29], v[60:63]// 000000006F28: D3F3003C 1CF2392C
	v_mfma_f32_16x16x32_fp8_fp8 v[60:63], a[46:47], a[30:31], v[60:63]// 000000006F30: D3F3003C 1CF23D2E
	v_mfma_f32_16x16x32_fp8_fp8 v[68:71], a[48:49], a[24:25], v[68:71]// 000000006F38: D3F30044 1D123130
	buffer_load_dwordx4 a[120:123], v45, s[24:27], 0 offen     // 000000006F40: E05C1000 8086782D
	v_mfma_f32_16x16x32_fp8_fp8 v[68:71], a[50:51], a[26:27], v[68:71]// 000000006F48: D3F30044 1D123532
	v_mfma_f32_16x16x32_fp8_fp8 v[68:71], a[52:53], a[28:29], v[68:71]// 000000006F50: D3F30044 1D123934
	v_mfma_f32_16x16x32_fp8_fp8 v[68:71], a[54:55], a[30:31], v[68:71]// 000000006F58: D3F30044 1D123D36
	v_mfma_f32_16x16x32_fp8_fp8 v[76:79], a[56:57], a[24:25], v[76:79]// 000000006F60: D3F3004C 1D323138
	buffer_load_dwordx4 a[124:127], v45, s[24:27], 0 offen offset:1024// 000000006F68: E05C1400 80867C2D
	buffer_load_dword v38, s[20:23], 0 offen lds               // 000000006F70: E0511000 80050026
	s_add_u32 m0, 0x100, s50                                   // 000000006F78: 807C32FF 00000100
	v_mfma_f32_16x16x32_fp8_fp8 v[76:79], a[58:59], a[26:27], v[76:79]// 000000006F80: D3F3004C 1D32353A
	v_mfma_f32_16x16x32_fp8_fp8 v[76:79], a[60:61], a[28:29], v[76:79]// 000000006F88: D3F3004C 1D32393C
	buffer_load_dword v39, s[20:23], 0 offen lds               // 000000006F90: E0511000 80050027
	s_add_u32 m0, 0x200, s50                                   // 000000006F98: 807C32FF 00000200
	v_mfma_f32_16x16x32_fp8_fp8 v[76:79], a[62:63], a[30:31], v[76:79]// 000000006FA0: D3F3004C 1D323D3E
	buffer_load_dword v40, s[20:23], 0 offen lds               // 000000006FA8: E0511000 80050028
	s_add_u32 m0, 0x300, s50                                   // 000000006FB0: 807C32FF 00000300
	buffer_load_dword v41, s[20:23], 0 offen lds               // 000000006FB8: E0511000 80050029
	s_add_u32 m0, 0, s48                                       // 000000006FC0: 807C3080
	s_waitcnt vmcnt(12)                                        // 000000006FC4: BF8C0F7C
	s_barrier                                                  // 000000006FC8: BF8A0000
	v_mfma_f32_16x16x32_fp8_fp8 v[80:83], a[64:65], a[16:17], v[80:83]// 000000006FCC: D3F30050 1D422140
	buffer_load_dwordx4 a[32:35], v42, s[84:87], 0 offen       // 000000006FD4: E05C1000 8095202A
	v_mfma_f32_16x16x32_fp8_fp8 v[80:83], a[66:67], a[18:19], v[80:83]// 000000006FDC: D3F30050 1D422542
	v_mfma_f32_16x16x32_fp8_fp8 v[80:83], a[68:69], a[20:21], v[80:83]// 000000006FE4: D3F30050 1D422944
	ds_read_b128 a[0:3], v2 offset:4224                        // 000000006FEC: DBFE1080 00000002
	ds_read_b128 a[4:7], v2 offset:4288                        // 000000006FF4: DBFE10C0 04000002
	v_mfma_f32_16x16x32_fp8_fp8 v[80:83], a[70:71], a[22:23], v[80:83]// 000000006FFC: D3F30050 1D422D46
	v_mfma_f32_16x16x32_fp8_fp8 v[88:91], a[72:73], a[16:17], v[88:91]// 000000007004: D3F30058 1D622148
	buffer_load_dwordx4 a[36:39], v42, s[84:87], 0 offen offset:1024// 00000000700C: E05C1400 8095242A
	v_mfma_f32_16x16x32_fp8_fp8 v[88:91], a[74:75], a[18:19], v[88:91]// 000000007014: D3F30058 1D62254A
	v_mfma_f32_16x16x32_fp8_fp8 v[88:91], a[76:77], a[20:21], v[88:91]// 00000000701C: D3F30058 1D62294C
	ds_read_b128 a[8:11], v2 offset:4736                       // 000000007024: DBFE1280 08000002
	ds_read_b128 a[12:15], v2 offset:4800                      // 00000000702C: DBFE12C0 0C000002
	v_mfma_f32_16x16x32_fp8_fp8 v[88:91], a[78:79], a[22:23], v[88:91]// 000000007034: D3F30058 1D622D4E
	v_mfma_f32_16x16x32_fp8_fp8 v[96:99], a[80:81], a[16:17], v[96:99]// 00000000703C: D3F30060 1D822150
	buffer_load_dwordx4 a[40:43], v43, s[84:87], 0 offen       // 000000007044: E05C1000 8095282B
	v_mfma_f32_16x16x32_fp8_fp8 v[96:99], a[82:83], a[18:19], v[96:99]// 00000000704C: D3F30060 1D822552
	v_mfma_f32_16x16x32_fp8_fp8 v[96:99], a[84:85], a[20:21], v[96:99]// 000000007054: D3F30060 1D822954
	v_mfma_f32_16x16x32_fp8_fp8 v[96:99], a[86:87], a[22:23], v[96:99]// 00000000705C: D3F30060 1D822D56
	v_mfma_f32_16x16x32_fp8_fp8 v[104:107], a[88:89], a[16:17], v[104:107]// 000000007064: D3F30068 1DA22158
	buffer_load_dwordx4 a[44:47], v43, s[84:87], 0 offen offset:1024// 00000000706C: E05C1400 80952C2B
	v_mfma_f32_16x16x32_fp8_fp8 v[104:107], a[90:91], a[18:19], v[104:107]// 000000007074: D3F30068 1DA2255A
	v_mfma_f32_16x16x32_fp8_fp8 v[104:107], a[92:93], a[20:21], v[104:107]// 00000000707C: D3F30068 1DA2295C
	v_mfma_f32_16x16x32_fp8_fp8 v[104:107], a[94:95], a[22:23], v[104:107]// 000000007084: D3F30068 1DA22D5E
	v_mfma_f32_16x16x32_fp8_fp8 v[84:87], a[64:65], a[24:25], v[84:87]// 00000000708C: D3F30054 1D523140
	buffer_load_dwordx4 a[48:51], v44, s[84:87], 0 offen       // 000000007094: E05C1000 8095302C
	v_mfma_f32_16x16x32_fp8_fp8 v[84:87], a[66:67], a[26:27], v[84:87]// 00000000709C: D3F30054 1D523542
	v_mfma_f32_16x16x32_fp8_fp8 v[84:87], a[68:69], a[28:29], v[84:87]// 0000000070A4: D3F30054 1D523944
	v_mfma_f32_16x16x32_fp8_fp8 v[84:87], a[70:71], a[30:31], v[84:87]// 0000000070AC: D3F30054 1D523D46
	v_mfma_f32_16x16x32_fp8_fp8 v[92:95], a[72:73], a[24:25], v[92:95]// 0000000070B4: D3F3005C 1D723148
	buffer_load_dwordx4 a[52:55], v44, s[84:87], 0 offen offset:1024// 0000000070BC: E05C1400 8095342C
	v_mfma_f32_16x16x32_fp8_fp8 v[92:95], a[74:75], a[26:27], v[92:95]// 0000000070C4: D3F3005C 1D72354A
	v_mfma_f32_16x16x32_fp8_fp8 v[92:95], a[76:77], a[28:29], v[92:95]// 0000000070CC: D3F3005C 1D72394C
	v_mfma_f32_16x16x32_fp8_fp8 v[92:95], a[78:79], a[30:31], v[92:95]// 0000000070D4: D3F3005C 1D723D4E
	v_mfma_f32_16x16x32_fp8_fp8 v[100:103], a[80:81], a[24:25], v[100:103]// 0000000070DC: D3F30064 1D923150
	buffer_load_dwordx4 a[56:59], v45, s[84:87], 0 offen       // 0000000070E4: E05C1000 8095382D
	s_add_u32 s60, 0x180, s80                                  // 0000000070EC: 803C50FF 00000180
	s_cmp_lt_u32 s60, s81                                      // 0000000070F4: BF0A513C
	s_cselect_b32 s57, s57, 0                                  // 0000000070F8: 85398039
	v_mfma_f32_16x16x32_fp8_fp8 v[100:103], a[82:83], a[26:27], v[100:103]// 0000000070FC: D3F30064 1D923552
	s_add_u32 s60, 0x100, s80                                  // 000000007104: 803C50FF 00000100
	s_cmp_lt_u32 s60, s81                                      // 00000000710C: BF0A513C
	s_cselect_b32 s58, s58, 0                                  // 000000007110: 853A803A
	v_mfma_f32_16x16x32_fp8_fp8 v[100:103], a[84:85], a[28:29], v[100:103]// 000000007114: D3F30064 1D923954
	s_add_u32 s60, 0x100, s80                                  // 00000000711C: 803C50FF 00000100
	s_cmp_lt_u32 s60, s81                                      // 000000007124: BF0A513C
	s_cselect_b32 s83, s83, 0                                  // 000000007128: 85538053
	v_mfma_f32_16x16x32_fp8_fp8 v[100:103], a[86:87], a[30:31], v[100:103]// 00000000712C: D3F30064 1D923D56
	s_add_u32 s24, s58, s24                                    // 000000007134: 8018183A
	s_addc_u32 s25, 0, s25                                     // 000000007138: 82191980
	v_mfma_f32_16x16x32_fp8_fp8 v[108:111], a[88:89], a[24:25], v[108:111]// 00000000713C: D3F3006C 1DB23158
	buffer_load_dwordx4 a[60:63], v45, s[84:87], 0 offen offset:1024// 000000007144: E05C1400 80953C2D
	s_add_u32 s20, s57, s20                                    // 00000000714C: 80141439
	s_addc_u32 s21, 0, s21                                     // 000000007150: 82151580
	v_mfma_f32_16x16x32_fp8_fp8 v[108:111], a[90:91], a[26:27], v[108:111]// 000000007154: D3F3006C 1DB2355A
	s_add_u32 s84, s83, s84                                    // 00000000715C: 80545453
	s_addc_u32 s85, 0, s85                                     // 000000007160: 82555580
	v_mfma_f32_16x16x32_fp8_fp8 v[108:111], a[92:93], a[28:29], v[108:111]// 000000007164: D3F3006C 1DB2395C
	v_mfma_f32_16x16x32_fp8_fp8 v[108:111], a[94:95], a[30:31], v[108:111]// 00000000716C: D3F3006C 1DB23D5E
	s_addk_i32 s80, 0x80                                       // 000000007174: B7500080
	s_cmp_lt_i32 s80, s81                                      // 000000007178: BF045150
	s_cbranch_scc0 label_1382                                  // 00000000717C: BF84019F
	s_waitcnt vmcnt(12) lgkmcnt(0)                             // 000000007180: BF8C007C
	v_mfma_f32_16x16x32_fp8_fp8 v[48:51], a[96:97], a[0:1], v[48:51]// 000000007184: D3F30030 1CC20160
	buffer_load_dwordx4 a[64:67], v42, s[24:27], 0 offen       // 00000000718C: E05C1000 8086402A
	v_mfma_f32_16x16x32_fp8_fp8 v[48:51], a[98:99], a[2:3], v[48:51]// 000000007194: D3F30030 1CC20562
	v_mfma_f32_16x16x32_fp8_fp8 v[48:51], a[100:101], a[4:5], v[48:51]// 00000000719C: D3F30030 1CC20964
	v_mfma_f32_16x16x32_fp8_fp8 v[48:51], a[102:103], a[6:7], v[48:51]// 0000000071A4: D3F30030 1CC20D66
	v_mfma_f32_16x16x32_fp8_fp8 v[56:59], a[104:105], a[0:1], v[56:59]// 0000000071AC: D3F30038 1CE20168
	buffer_load_dwordx4 a[68:71], v42, s[24:27], 0 offen offset:1024// 0000000071B4: E05C1400 8086442A
	v_mfma_f32_16x16x32_fp8_fp8 v[56:59], a[106:107], a[2:3], v[56:59]// 0000000071BC: D3F30038 1CE2056A
	v_mfma_f32_16x16x32_fp8_fp8 v[56:59], a[108:109], a[4:5], v[56:59]// 0000000071C4: D3F30038 1CE2096C
	v_mfma_f32_16x16x32_fp8_fp8 v[56:59], a[110:111], a[6:7], v[56:59]// 0000000071CC: D3F30038 1CE20D6E
	v_mfma_f32_16x16x32_fp8_fp8 v[64:67], a[112:113], a[0:1], v[64:67]// 0000000071D4: D3F30040 1D020170
	buffer_load_dwordx4 a[72:75], v43, s[24:27], 0 offen       // 0000000071DC: E05C1000 8086482B
	v_mfma_f32_16x16x32_fp8_fp8 v[64:67], a[114:115], a[2:3], v[64:67]// 0000000071E4: D3F30040 1D020572
	v_mfma_f32_16x16x32_fp8_fp8 v[64:67], a[116:117], a[4:5], v[64:67]// 0000000071EC: D3F30040 1D020974
	v_mfma_f32_16x16x32_fp8_fp8 v[64:67], a[118:119], a[6:7], v[64:67]// 0000000071F4: D3F30040 1D020D76
	v_mfma_f32_16x16x32_fp8_fp8 v[72:75], a[120:121], a[0:1], v[72:75]// 0000000071FC: D3F30048 1D220178
	buffer_load_dwordx4 a[76:79], v43, s[24:27], 0 offen offset:1024// 000000007204: E05C1400 80864C2B
	v_mfma_f32_16x16x32_fp8_fp8 v[72:75], a[122:123], a[2:3], v[72:75]// 00000000720C: D3F30048 1D22057A
	v_mfma_f32_16x16x32_fp8_fp8 v[72:75], a[124:125], a[4:5], v[72:75]// 000000007214: D3F30048 1D22097C
	v_mfma_f32_16x16x32_fp8_fp8 v[72:75], a[126:127], a[6:7], v[72:75]// 00000000721C: D3F30048 1D220D7E
	v_mfma_f32_16x16x32_fp8_fp8 v[52:55], a[96:97], a[8:9], v[52:55]// 000000007224: D3F30034 1CD21160
	buffer_load_dwordx4 a[80:83], v44, s[24:27], 0 offen       // 00000000722C: E05C1000 8086502C
	v_mfma_f32_16x16x32_fp8_fp8 v[52:55], a[98:99], a[10:11], v[52:55]// 000000007234: D3F30034 1CD21562
	v_mfma_f32_16x16x32_fp8_fp8 v[52:55], a[100:101], a[12:13], v[52:55]// 00000000723C: D3F30034 1CD21964
	v_mfma_f32_16x16x32_fp8_fp8 v[52:55], a[102:103], a[14:15], v[52:55]// 000000007244: D3F30034 1CD21D66
	v_mfma_f32_16x16x32_fp8_fp8 v[60:63], a[104:105], a[8:9], v[60:63]// 00000000724C: D3F3003C 1CF21168
	buffer_load_dwordx4 a[84:87], v44, s[24:27], 0 offen offset:1024// 000000007254: E05C1400 8086542C
	v_mfma_f32_16x16x32_fp8_fp8 v[60:63], a[106:107], a[10:11], v[60:63]// 00000000725C: D3F3003C 1CF2156A
	v_mfma_f32_16x16x32_fp8_fp8 v[60:63], a[108:109], a[12:13], v[60:63]// 000000007264: D3F3003C 1CF2196C
	v_mfma_f32_16x16x32_fp8_fp8 v[60:63], a[110:111], a[14:15], v[60:63]// 00000000726C: D3F3003C 1CF21D6E
	v_mfma_f32_16x16x32_fp8_fp8 v[68:71], a[112:113], a[8:9], v[68:71]// 000000007274: D3F30044 1D121170
	buffer_load_dwordx4 a[88:91], v45, s[24:27], 0 offen       // 00000000727C: E05C1000 8086582D
	v_mfma_f32_16x16x32_fp8_fp8 v[68:71], a[114:115], a[10:11], v[68:71]// 000000007284: D3F30044 1D121572
	v_mfma_f32_16x16x32_fp8_fp8 v[68:71], a[116:117], a[12:13], v[68:71]// 00000000728C: D3F30044 1D121974
	v_mfma_f32_16x16x32_fp8_fp8 v[68:71], a[118:119], a[14:15], v[68:71]// 000000007294: D3F30044 1D121D76
	v_mfma_f32_16x16x32_fp8_fp8 v[76:79], a[120:121], a[8:9], v[76:79]// 00000000729C: D3F3004C 1D321178
	buffer_load_dwordx4 a[92:95], v45, s[24:27], 0 offen offset:1024// 0000000072A4: E05C1400 80865C2D
	buffer_load_dword v38, s[20:23], 0 offen lds               // 0000000072AC: E0511000 80050026
	s_add_u32 m0, 0x100, s48                                   // 0000000072B4: 807C30FF 00000100
	v_mfma_f32_16x16x32_fp8_fp8 v[76:79], a[122:123], a[10:11], v[76:79]// 0000000072BC: D3F3004C 1D32157A
	v_mfma_f32_16x16x32_fp8_fp8 v[76:79], a[124:125], a[12:13], v[76:79]// 0000000072C4: D3F3004C 1D32197C
	buffer_load_dword v39, s[20:23], 0 offen lds               // 0000000072CC: E0511000 80050027
	s_add_u32 m0, 0x200, s48                                   // 0000000072D4: 807C30FF 00000200
	v_mfma_f32_16x16x32_fp8_fp8 v[76:79], a[126:127], a[14:15], v[76:79]// 0000000072DC: D3F3004C 1D321D7E
	buffer_load_dword v40, s[20:23], 0 offen lds               // 0000000072E4: E0511000 80050028
	s_add_u32 m0, 0x300, s48                                   // 0000000072EC: 807C30FF 00000300
	buffer_load_dword v41, s[20:23], 0 offen lds               // 0000000072F4: E0511000 80050029
	s_add_u32 m0, 0, s49                                       // 0000000072FC: 807C3180
	s_waitcnt vmcnt(12)                                        // 000000007300: BF8C0F7C
	s_barrier                                                  // 000000007304: BF8A0000
	v_mfma_f32_16x16x32_fp8_fp8 v[80:83], a[32:33], a[0:1], v[80:83]// 000000007308: D3F30050 1D420120
	buffer_load_dwordx4 a[96:99], v42, s[84:87], 0 offen       // 000000007310: E05C1000 8095602A
	v_mfma_f32_16x16x32_fp8_fp8 v[80:83], a[34:35], a[2:3], v[80:83]// 000000007318: D3F30050 1D420522
	v_mfma_f32_16x16x32_fp8_fp8 v[80:83], a[36:37], a[4:5], v[80:83]// 000000007320: D3F30050 1D420924
	ds_read_b128 a[16:19], v2 offset:8448                      // 000000007328: DBFE2100 10000002
	ds_read_b128 a[20:23], v2 offset:8512                      // 000000007330: DBFE2140 14000002
	v_mfma_f32_16x16x32_fp8_fp8 v[80:83], a[38:39], a[6:7], v[80:83]// 000000007338: D3F30050 1D420D26
	v_mfma_f32_16x16x32_fp8_fp8 v[88:91], a[40:41], a[0:1], v[88:91]// 000000007340: D3F30058 1D620128
	buffer_load_dwordx4 a[100:103], v42, s[84:87], 0 offen offset:1024// 000000007348: E05C1400 8095642A
	v_mfma_f32_16x16x32_fp8_fp8 v[88:91], a[42:43], a[2:3], v[88:91]// 000000007350: D3F30058 1D62052A
	v_mfma_f32_16x16x32_fp8_fp8 v[88:91], a[44:45], a[4:5], v[88:91]// 000000007358: D3F30058 1D62092C
	ds_read_b128 a[24:27], v2 offset:8960                      // 000000007360: DBFE2300 18000002
	ds_read_b128 a[28:31], v2 offset:9024                      // 000000007368: DBFE2340 1C000002
	v_mfma_f32_16x16x32_fp8_fp8 v[88:91], a[46:47], a[6:7], v[88:91]// 000000007370: D3F30058 1D620D2E
	v_mfma_f32_16x16x32_fp8_fp8 v[96:99], a[48:49], a[0:1], v[96:99]// 000000007378: D3F30060 1D820130
	buffer_load_dwordx4 a[104:107], v43, s[84:87], 0 offen     // 000000007380: E05C1000 8095682B
	v_mfma_f32_16x16x32_fp8_fp8 v[96:99], a[50:51], a[2:3], v[96:99]// 000000007388: D3F30060 1D820532
	v_mfma_f32_16x16x32_fp8_fp8 v[96:99], a[52:53], a[4:5], v[96:99]// 000000007390: D3F30060 1D820934
	v_mfma_f32_16x16x32_fp8_fp8 v[96:99], a[54:55], a[6:7], v[96:99]// 000000007398: D3F30060 1D820D36
	v_mfma_f32_16x16x32_fp8_fp8 v[104:107], a[56:57], a[0:1], v[104:107]// 0000000073A0: D3F30068 1DA20138
	buffer_load_dwordx4 a[108:111], v43, s[84:87], 0 offen offset:1024// 0000000073A8: E05C1400 80956C2B
	v_mfma_f32_16x16x32_fp8_fp8 v[104:107], a[58:59], a[2:3], v[104:107]// 0000000073B0: D3F30068 1DA2053A
	v_mfma_f32_16x16x32_fp8_fp8 v[104:107], a[60:61], a[4:5], v[104:107]// 0000000073B8: D3F30068 1DA2093C
	v_mfma_f32_16x16x32_fp8_fp8 v[104:107], a[62:63], a[6:7], v[104:107]// 0000000073C0: D3F30068 1DA20D3E
	v_mfma_f32_16x16x32_fp8_fp8 v[84:87], a[32:33], a[8:9], v[84:87]// 0000000073C8: D3F30054 1D521120
	buffer_load_dwordx4 a[112:115], v44, s[84:87], 0 offen     // 0000000073D0: E05C1000 8095702C
	v_mfma_f32_16x16x32_fp8_fp8 v[84:87], a[34:35], a[10:11], v[84:87]// 0000000073D8: D3F30054 1D521522
	v_mfma_f32_16x16x32_fp8_fp8 v[84:87], a[36:37], a[12:13], v[84:87]// 0000000073E0: D3F30054 1D521924
	v_mfma_f32_16x16x32_fp8_fp8 v[84:87], a[38:39], a[14:15], v[84:87]// 0000000073E8: D3F30054 1D521D26
	v_mfma_f32_16x16x32_fp8_fp8 v[92:95], a[40:41], a[8:9], v[92:95]// 0000000073F0: D3F3005C 1D721128
	buffer_load_dwordx4 a[116:119], v44, s[84:87], 0 offen offset:1024// 0000000073F8: E05C1400 8095742C
	v_mfma_f32_16x16x32_fp8_fp8 v[92:95], a[42:43], a[10:11], v[92:95]// 000000007400: D3F3005C 1D72152A
	v_mfma_f32_16x16x32_fp8_fp8 v[92:95], a[44:45], a[12:13], v[92:95]// 000000007408: D3F3005C 1D72192C
	v_mfma_f32_16x16x32_fp8_fp8 v[92:95], a[46:47], a[14:15], v[92:95]// 000000007410: D3F3005C 1D721D2E
	v_mfma_f32_16x16x32_fp8_fp8 v[100:103], a[48:49], a[8:9], v[100:103]// 000000007418: D3F30064 1D921130
	buffer_load_dwordx4 a[120:123], v45, s[84:87], 0 offen     // 000000007420: E05C1000 8095782D
	s_add_u32 s60, 0x180, s80                                  // 000000007428: 803C50FF 00000180
	s_cmp_lt_u32 s60, s81                                      // 000000007430: BF0A513C
	s_cselect_b32 s57, s57, 0                                  // 000000007434: 85398039
	v_mfma_f32_16x16x32_fp8_fp8 v[100:103], a[50:51], a[10:11], v[100:103]// 000000007438: D3F30064 1D921532
	s_add_u32 s60, 0x100, s80                                  // 000000007440: 803C50FF 00000100
	s_cmp_lt_u32 s60, s81                                      // 000000007448: BF0A513C
	s_cselect_b32 s58, s58, 0                                  // 00000000744C: 853A803A
	v_mfma_f32_16x16x32_fp8_fp8 v[100:103], a[52:53], a[12:13], v[100:103]// 000000007450: D3F30064 1D921934
	s_add_u32 s60, 0x100, s80                                  // 000000007458: 803C50FF 00000100
	s_cmp_lt_u32 s60, s81                                      // 000000007460: BF0A513C
	s_cselect_b32 s83, s83, 0                                  // 000000007464: 85538053
	v_mfma_f32_16x16x32_fp8_fp8 v[100:103], a[54:55], a[14:15], v[100:103]// 000000007468: D3F30064 1D921D36
	s_add_u32 s24, s58, s24                                    // 000000007470: 8018183A
	s_addc_u32 s25, 0, s25                                     // 000000007474: 82191980
	v_mfma_f32_16x16x32_fp8_fp8 v[108:111], a[56:57], a[8:9], v[108:111]// 000000007478: D3F3006C 1DB21138
	buffer_load_dwordx4 a[124:127], v45, s[84:87], 0 offen offset:1024// 000000007480: E05C1400 80957C2D
	s_add_u32 s20, s57, s20                                    // 000000007488: 80141439
	s_addc_u32 s21, 0, s21                                     // 00000000748C: 82151580
	v_mfma_f32_16x16x32_fp8_fp8 v[108:111], a[58:59], a[10:11], v[108:111]// 000000007490: D3F3006C 1DB2153A
	s_add_u32 s84, s83, s84                                    // 000000007498: 80545453
	s_addc_u32 s85, 0, s85                                     // 00000000749C: 82555580
	v_mfma_f32_16x16x32_fp8_fp8 v[108:111], a[60:61], a[12:13], v[108:111]// 0000000074A0: D3F3006C 1DB2193C
	v_mfma_f32_16x16x32_fp8_fp8 v[108:111], a[62:63], a[14:15], v[108:111]// 0000000074A8: D3F3006C 1DB21D3E
	s_addk_i32 s80, 0x80                                       // 0000000074B0: B7500080
	s_cmp_lt_i32 s80, s81                                      // 0000000074B4: BF045150
	s_cbranch_scc0 label_1382                                  // 0000000074B8: BF8400D0
	s_waitcnt vmcnt(12) lgkmcnt(0)                             // 0000000074BC: BF8C007C
	v_mfma_f32_16x16x32_fp8_fp8 v[48:51], a[64:65], a[16:17], v[48:51]// 0000000074C0: D3F30030 1CC22140
	buffer_load_dwordx4 a[32:35], v42, s[24:27], 0 offen       // 0000000074C8: E05C1000 8086202A
	v_mfma_f32_16x16x32_fp8_fp8 v[48:51], a[66:67], a[18:19], v[48:51]// 0000000074D0: D3F30030 1CC22542
	v_mfma_f32_16x16x32_fp8_fp8 v[48:51], a[68:69], a[20:21], v[48:51]// 0000000074D8: D3F30030 1CC22944
	v_mfma_f32_16x16x32_fp8_fp8 v[48:51], a[70:71], a[22:23], v[48:51]// 0000000074E0: D3F30030 1CC22D46
	v_mfma_f32_16x16x32_fp8_fp8 v[56:59], a[72:73], a[16:17], v[56:59]// 0000000074E8: D3F30038 1CE22148
	buffer_load_dwordx4 a[36:39], v42, s[24:27], 0 offen offset:1024// 0000000074F0: E05C1400 8086242A
	v_mfma_f32_16x16x32_fp8_fp8 v[56:59], a[74:75], a[18:19], v[56:59]// 0000000074F8: D3F30038 1CE2254A
	v_mfma_f32_16x16x32_fp8_fp8 v[56:59], a[76:77], a[20:21], v[56:59]// 000000007500: D3F30038 1CE2294C
	v_mfma_f32_16x16x32_fp8_fp8 v[56:59], a[78:79], a[22:23], v[56:59]// 000000007508: D3F30038 1CE22D4E
	v_mfma_f32_16x16x32_fp8_fp8 v[64:67], a[80:81], a[16:17], v[64:67]// 000000007510: D3F30040 1D022150
	buffer_load_dwordx4 a[40:43], v43, s[24:27], 0 offen       // 000000007518: E05C1000 8086282B
	v_mfma_f32_16x16x32_fp8_fp8 v[64:67], a[82:83], a[18:19], v[64:67]// 000000007520: D3F30040 1D022552
	v_mfma_f32_16x16x32_fp8_fp8 v[64:67], a[84:85], a[20:21], v[64:67]// 000000007528: D3F30040 1D022954
	v_mfma_f32_16x16x32_fp8_fp8 v[64:67], a[86:87], a[22:23], v[64:67]// 000000007530: D3F30040 1D022D56
	v_mfma_f32_16x16x32_fp8_fp8 v[72:75], a[88:89], a[16:17], v[72:75]// 000000007538: D3F30048 1D222158
	buffer_load_dwordx4 a[44:47], v43, s[24:27], 0 offen offset:1024// 000000007540: E05C1400 80862C2B
	v_mfma_f32_16x16x32_fp8_fp8 v[72:75], a[90:91], a[18:19], v[72:75]// 000000007548: D3F30048 1D22255A
	v_mfma_f32_16x16x32_fp8_fp8 v[72:75], a[92:93], a[20:21], v[72:75]// 000000007550: D3F30048 1D22295C
	v_mfma_f32_16x16x32_fp8_fp8 v[72:75], a[94:95], a[22:23], v[72:75]// 000000007558: D3F30048 1D222D5E
	v_mfma_f32_16x16x32_fp8_fp8 v[52:55], a[64:65], a[24:25], v[52:55]// 000000007560: D3F30034 1CD23140
	buffer_load_dwordx4 a[48:51], v44, s[24:27], 0 offen       // 000000007568: E05C1000 8086302C
	v_mfma_f32_16x16x32_fp8_fp8 v[52:55], a[66:67], a[26:27], v[52:55]// 000000007570: D3F30034 1CD23542
	v_mfma_f32_16x16x32_fp8_fp8 v[52:55], a[68:69], a[28:29], v[52:55]// 000000007578: D3F30034 1CD23944
	v_mfma_f32_16x16x32_fp8_fp8 v[52:55], a[70:71], a[30:31], v[52:55]// 000000007580: D3F30034 1CD23D46
	v_mfma_f32_16x16x32_fp8_fp8 v[60:63], a[72:73], a[24:25], v[60:63]// 000000007588: D3F3003C 1CF23148
	buffer_load_dwordx4 a[52:55], v44, s[24:27], 0 offen offset:1024// 000000007590: E05C1400 8086342C
	v_mfma_f32_16x16x32_fp8_fp8 v[60:63], a[74:75], a[26:27], v[60:63]// 000000007598: D3F3003C 1CF2354A
	v_mfma_f32_16x16x32_fp8_fp8 v[60:63], a[76:77], a[28:29], v[60:63]// 0000000075A0: D3F3003C 1CF2394C
	v_mfma_f32_16x16x32_fp8_fp8 v[60:63], a[78:79], a[30:31], v[60:63]// 0000000075A8: D3F3003C 1CF23D4E
	v_mfma_f32_16x16x32_fp8_fp8 v[68:71], a[80:81], a[24:25], v[68:71]// 0000000075B0: D3F30044 1D123150
	buffer_load_dwordx4 a[56:59], v45, s[24:27], 0 offen       // 0000000075B8: E05C1000 8086382D
	v_mfma_f32_16x16x32_fp8_fp8 v[68:71], a[82:83], a[26:27], v[68:71]// 0000000075C0: D3F30044 1D123552
	v_mfma_f32_16x16x32_fp8_fp8 v[68:71], a[84:85], a[28:29], v[68:71]// 0000000075C8: D3F30044 1D123954
	v_mfma_f32_16x16x32_fp8_fp8 v[68:71], a[86:87], a[30:31], v[68:71]// 0000000075D0: D3F30044 1D123D56
	v_mfma_f32_16x16x32_fp8_fp8 v[76:79], a[88:89], a[24:25], v[76:79]// 0000000075D8: D3F3004C 1D323158
	buffer_load_dwordx4 a[60:63], v45, s[24:27], 0 offen offset:1024// 0000000075E0: E05C1400 80863C2D
	buffer_load_dword v38, s[20:23], 0 offen lds               // 0000000075E8: E0511000 80050026
	s_add_u32 m0, 0x100, s49                                   // 0000000075F0: 807C31FF 00000100
	v_mfma_f32_16x16x32_fp8_fp8 v[76:79], a[90:91], a[26:27], v[76:79]// 0000000075F8: D3F3004C 1D32355A
	v_mfma_f32_16x16x32_fp8_fp8 v[76:79], a[92:93], a[28:29], v[76:79]// 000000007600: D3F3004C 1D32395C
	buffer_load_dword v39, s[20:23], 0 offen lds               // 000000007608: E0511000 80050027
	s_add_u32 m0, 0x200, s49                                   // 000000007610: 807C31FF 00000200
	v_mfma_f32_16x16x32_fp8_fp8 v[76:79], a[94:95], a[30:31], v[76:79]// 000000007618: D3F3004C 1D323D5E
	buffer_load_dword v40, s[20:23], 0 offen lds               // 000000007620: E0511000 80050028
	s_add_u32 m0, 0x300, s49                                   // 000000007628: 807C31FF 00000300
	buffer_load_dword v41, s[20:23], 0 offen lds               // 000000007630: E0511000 80050029
	s_add_u32 m0, 0, s50                                       // 000000007638: 807C3280
	s_waitcnt vmcnt(12)                                        // 00000000763C: BF8C0F7C
	s_barrier                                                  // 000000007640: BF8A0000
	v_mfma_f32_16x16x32_fp8_fp8 v[80:83], a[96:97], a[16:17], v[80:83]// 000000007644: D3F30050 1D422160
	buffer_load_dwordx4 a[64:67], v42, s[84:87], 0 offen       // 00000000764C: E05C1000 8095402A
	v_mfma_f32_16x16x32_fp8_fp8 v[80:83], a[98:99], a[18:19], v[80:83]// 000000007654: D3F30050 1D422562
	v_mfma_f32_16x16x32_fp8_fp8 v[80:83], a[100:101], a[20:21], v[80:83]// 00000000765C: D3F30050 1D422964
	ds_read_b128 a[0:3], v2                                    // 000000007664: DBFE0000 00000002
	ds_read_b128 a[4:7], v2 offset:64                          // 00000000766C: DBFE0040 04000002
	v_mfma_f32_16x16x32_fp8_fp8 v[80:83], a[102:103], a[22:23], v[80:83]// 000000007674: D3F30050 1D422D66
	v_mfma_f32_16x16x32_fp8_fp8 v[88:91], a[104:105], a[16:17], v[88:91]// 00000000767C: D3F30058 1D622168
	buffer_load_dwordx4 a[68:71], v42, s[84:87], 0 offen offset:1024// 000000007684: E05C1400 8095442A
	v_mfma_f32_16x16x32_fp8_fp8 v[88:91], a[106:107], a[18:19], v[88:91]// 00000000768C: D3F30058 1D62256A
	v_mfma_f32_16x16x32_fp8_fp8 v[88:91], a[108:109], a[20:21], v[88:91]// 000000007694: D3F30058 1D62296C
	ds_read_b128 a[8:11], v2 offset:512                        // 00000000769C: DBFE0200 08000002
	ds_read_b128 a[12:15], v2 offset:576                       // 0000000076A4: DBFE0240 0C000002
	v_mfma_f32_16x16x32_fp8_fp8 v[88:91], a[110:111], a[22:23], v[88:91]// 0000000076AC: D3F30058 1D622D6E
	v_mfma_f32_16x16x32_fp8_fp8 v[96:99], a[112:113], a[16:17], v[96:99]// 0000000076B4: D3F30060 1D822170
	buffer_load_dwordx4 a[72:75], v43, s[84:87], 0 offen       // 0000000076BC: E05C1000 8095482B
	v_mfma_f32_16x16x32_fp8_fp8 v[96:99], a[114:115], a[18:19], v[96:99]// 0000000076C4: D3F30060 1D822572
	v_mfma_f32_16x16x32_fp8_fp8 v[96:99], a[116:117], a[20:21], v[96:99]// 0000000076CC: D3F30060 1D822974
	v_mfma_f32_16x16x32_fp8_fp8 v[96:99], a[118:119], a[22:23], v[96:99]// 0000000076D4: D3F30060 1D822D76
	v_mfma_f32_16x16x32_fp8_fp8 v[104:107], a[120:121], a[16:17], v[104:107]// 0000000076DC: D3F30068 1DA22178
	buffer_load_dwordx4 a[76:79], v43, s[84:87], 0 offen offset:1024// 0000000076E4: E05C1400 80954C2B
	v_mfma_f32_16x16x32_fp8_fp8 v[104:107], a[122:123], a[18:19], v[104:107]// 0000000076EC: D3F30068 1DA2257A
	v_mfma_f32_16x16x32_fp8_fp8 v[104:107], a[124:125], a[20:21], v[104:107]// 0000000076F4: D3F30068 1DA2297C
	v_mfma_f32_16x16x32_fp8_fp8 v[104:107], a[126:127], a[22:23], v[104:107]// 0000000076FC: D3F30068 1DA22D7E
	v_mfma_f32_16x16x32_fp8_fp8 v[84:87], a[96:97], a[24:25], v[84:87]// 000000007704: D3F30054 1D523160
	buffer_load_dwordx4 a[80:83], v44, s[84:87], 0 offen       // 00000000770C: E05C1000 8095502C
	v_mfma_f32_16x16x32_fp8_fp8 v[84:87], a[98:99], a[26:27], v[84:87]// 000000007714: D3F30054 1D523562
	v_mfma_f32_16x16x32_fp8_fp8 v[84:87], a[100:101], a[28:29], v[84:87]// 00000000771C: D3F30054 1D523964
	v_mfma_f32_16x16x32_fp8_fp8 v[84:87], a[102:103], a[30:31], v[84:87]// 000000007724: D3F30054 1D523D66
	v_mfma_f32_16x16x32_fp8_fp8 v[92:95], a[104:105], a[24:25], v[92:95]// 00000000772C: D3F3005C 1D723168
	buffer_load_dwordx4 a[84:87], v44, s[84:87], 0 offen offset:1024// 000000007734: E05C1400 8095542C
	v_mfma_f32_16x16x32_fp8_fp8 v[92:95], a[106:107], a[26:27], v[92:95]// 00000000773C: D3F3005C 1D72356A
	v_mfma_f32_16x16x32_fp8_fp8 v[92:95], a[108:109], a[28:29], v[92:95]// 000000007744: D3F3005C 1D72396C
	v_mfma_f32_16x16x32_fp8_fp8 v[92:95], a[110:111], a[30:31], v[92:95]// 00000000774C: D3F3005C 1D723D6E
	v_mfma_f32_16x16x32_fp8_fp8 v[100:103], a[112:113], a[24:25], v[100:103]// 000000007754: D3F30064 1D923170
	buffer_load_dwordx4 a[88:91], v45, s[84:87], 0 offen       // 00000000775C: E05C1000 8095582D
	s_add_u32 s60, 0x180, s80                                  // 000000007764: 803C50FF 00000180
	s_cmp_lt_u32 s60, s81                                      // 00000000776C: BF0A513C
	s_cselect_b32 s57, s57, 0                                  // 000000007770: 85398039
	v_mfma_f32_16x16x32_fp8_fp8 v[100:103], a[114:115], a[26:27], v[100:103]// 000000007774: D3F30064 1D923572
	s_add_u32 s60, 0x100, s80                                  // 00000000777C: 803C50FF 00000100
	s_cmp_lt_u32 s60, s81                                      // 000000007784: BF0A513C
	s_cselect_b32 s58, s58, 0                                  // 000000007788: 853A803A
	v_mfma_f32_16x16x32_fp8_fp8 v[100:103], a[116:117], a[28:29], v[100:103]// 00000000778C: D3F30064 1D923974
	s_add_u32 s60, 0x100, s80                                  // 000000007794: 803C50FF 00000100
	s_cmp_lt_u32 s60, s81                                      // 00000000779C: BF0A513C
	s_cselect_b32 s83, s83, 0                                  // 0000000077A0: 85538053
	v_mfma_f32_16x16x32_fp8_fp8 v[100:103], a[118:119], a[30:31], v[100:103]// 0000000077A4: D3F30064 1D923D76
	s_add_u32 s24, s58, s24                                    // 0000000077AC: 8018183A
	s_addc_u32 s25, 0, s25                                     // 0000000077B0: 82191980
	v_mfma_f32_16x16x32_fp8_fp8 v[108:111], a[120:121], a[24:25], v[108:111]// 0000000077B4: D3F3006C 1DB23178
	buffer_load_dwordx4 a[92:95], v45, s[84:87], 0 offen offset:1024// 0000000077BC: E05C1400 80955C2D
	s_add_u32 s20, s57, s20                                    // 0000000077C4: 80141439
	s_addc_u32 s21, 0, s21                                     // 0000000077C8: 82151580
	v_mfma_f32_16x16x32_fp8_fp8 v[108:111], a[122:123], a[26:27], v[108:111]// 0000000077CC: D3F3006C 1DB2357A
	s_add_u32 s84, s83, s84                                    // 0000000077D4: 80545453
	s_addc_u32 s85, 0, s85                                     // 0000000077D8: 82555580
	v_mfma_f32_16x16x32_fp8_fp8 v[108:111], a[124:125], a[28:29], v[108:111]// 0000000077DC: D3F3006C 1DB2397C
	v_mfma_f32_16x16x32_fp8_fp8 v[108:111], a[126:127], a[30:31], v[108:111]// 0000000077E4: D3F3006C 1DB23D7E
	s_addk_i32 s80, 0x80                                       // 0000000077EC: B7500080
	s_cmp_lt_i32 s80, s81                                      // 0000000077F0: BF045150
	s_cbranch_scc0 label_1382                                  // 0000000077F4: BF840001
	s_branch label_0EA7                                        // 0000000077F8: BF82FB25

00000000000077fc <label_1382>:
	v_mul_f32_dpp v48, v24, v48 row_newbcast:0 row_mask:0xf bank_mask:0xf// 0000000077FC: 0A6060FA FF015018
	v_mul_f32_dpp v49, v24, v49 row_newbcast:1 row_mask:0xf bank_mask:0xf// 000000007804: 0A6262FA FF015118
	v_mul_f32_dpp v50, v24, v50 row_newbcast:2 row_mask:0xf bank_mask:0xf// 00000000780C: 0A6464FA FF015218
	v_mul_f32_dpp v51, v24, v51 row_newbcast:3 row_mask:0xf bank_mask:0xf// 000000007814: 0A6666FA FF015318
	v_mul_f32_dpp v52, v24, v52 row_newbcast:0 row_mask:0xf bank_mask:0xf// 00000000781C: 0A6868FA FF015018
	v_mul_f32_dpp v53, v24, v53 row_newbcast:1 row_mask:0xf bank_mask:0xf// 000000007824: 0A6A6AFA FF015118
	v_mul_f32_dpp v54, v24, v54 row_newbcast:2 row_mask:0xf bank_mask:0xf// 00000000782C: 0A6C6CFA FF015218
	v_mul_f32_dpp v55, v24, v55 row_newbcast:3 row_mask:0xf bank_mask:0xf// 000000007834: 0A6E6EFA FF015318
	v_mul_f32_dpp v56, v24, v56 row_newbcast:4 row_mask:0xf bank_mask:0xf// 00000000783C: 0A7070FA FF015418
	v_mul_f32_dpp v57, v24, v57 row_newbcast:5 row_mask:0xf bank_mask:0xf// 000000007844: 0A7272FA FF015518
	v_mul_f32_dpp v58, v24, v58 row_newbcast:6 row_mask:0xf bank_mask:0xf// 00000000784C: 0A7474FA FF015618
	v_mul_f32_dpp v59, v24, v59 row_newbcast:7 row_mask:0xf bank_mask:0xf// 000000007854: 0A7676FA FF015718
	v_mul_f32_dpp v60, v24, v60 row_newbcast:4 row_mask:0xf bank_mask:0xf// 00000000785C: 0A7878FA FF015418
	v_mul_f32_dpp v61, v24, v61 row_newbcast:5 row_mask:0xf bank_mask:0xf// 000000007864: 0A7A7AFA FF015518
	v_mul_f32_dpp v62, v24, v62 row_newbcast:6 row_mask:0xf bank_mask:0xf// 00000000786C: 0A7C7CFA FF015618
	v_mul_f32_dpp v63, v24, v63 row_newbcast:7 row_mask:0xf bank_mask:0xf// 000000007874: 0A7E7EFA FF015718
	v_mul_f32_dpp v64, v24, v64 row_newbcast:8 row_mask:0xf bank_mask:0xf// 00000000787C: 0A8080FA FF015818
	v_mul_f32_dpp v65, v24, v65 row_newbcast:9 row_mask:0xf bank_mask:0xf// 000000007884: 0A8282FA FF015918
	v_mul_f32_dpp v66, v24, v66 row_newbcast:10 row_mask:0xf bank_mask:0xf// 00000000788C: 0A8484FA FF015A18
	v_mul_f32_dpp v67, v24, v67 row_newbcast:11 row_mask:0xf bank_mask:0xf// 000000007894: 0A8686FA FF015B18
	v_mul_f32_dpp v68, v24, v68 row_newbcast:8 row_mask:0xf bank_mask:0xf// 00000000789C: 0A8888FA FF015818
	v_mul_f32_dpp v69, v24, v69 row_newbcast:9 row_mask:0xf bank_mask:0xf// 0000000078A4: 0A8A8AFA FF015918
	v_mul_f32_dpp v70, v24, v70 row_newbcast:10 row_mask:0xf bank_mask:0xf// 0000000078AC: 0A8C8CFA FF015A18
	v_mul_f32_dpp v71, v24, v71 row_newbcast:11 row_mask:0xf bank_mask:0xf// 0000000078B4: 0A8E8EFA FF015B18
	v_mul_f32_dpp v72, v24, v72 row_newbcast:12 row_mask:0xf bank_mask:0xf// 0000000078BC: 0A9090FA FF015C18
	v_mul_f32_dpp v73, v24, v73 row_newbcast:13 row_mask:0xf bank_mask:0xf// 0000000078C4: 0A9292FA FF015D18
	v_mul_f32_dpp v74, v24, v74 row_newbcast:14 row_mask:0xf bank_mask:0xf// 0000000078CC: 0A9494FA FF015E18
	v_mul_f32_dpp v75, v24, v75 row_newbcast:15 row_mask:0xf bank_mask:0xf// 0000000078D4: 0A9696FA FF015F18
	v_mul_f32_dpp v76, v24, v76 row_newbcast:12 row_mask:0xf bank_mask:0xf// 0000000078DC: 0A9898FA FF015C18
	v_mul_f32_dpp v77, v24, v77 row_newbcast:13 row_mask:0xf bank_mask:0xf// 0000000078E4: 0A9A9AFA FF015D18
	v_mul_f32_dpp v78, v24, v78 row_newbcast:14 row_mask:0xf bank_mask:0xf// 0000000078EC: 0A9C9CFA FF015E18
	v_mul_f32_dpp v79, v24, v79 row_newbcast:15 row_mask:0xf bank_mask:0xf// 0000000078F4: 0A9E9EFA FF015F18
	v_mul_f32_dpp v80, v27, v80 row_newbcast:0 row_mask:0xf bank_mask:0xf// 0000000078FC: 0AA0A0FA FF01501B
	v_mul_f32_dpp v81, v27, v81 row_newbcast:1 row_mask:0xf bank_mask:0xf// 000000007904: 0AA2A2FA FF01511B
	v_mul_f32_dpp v82, v27, v82 row_newbcast:2 row_mask:0xf bank_mask:0xf// 00000000790C: 0AA4A4FA FF01521B
	v_mul_f32_dpp v83, v27, v83 row_newbcast:3 row_mask:0xf bank_mask:0xf// 000000007914: 0AA6A6FA FF01531B
	v_mul_f32_dpp v84, v27, v84 row_newbcast:0 row_mask:0xf bank_mask:0xf// 00000000791C: 0AA8A8FA FF01501B
	v_mul_f32_dpp v85, v27, v85 row_newbcast:1 row_mask:0xf bank_mask:0xf// 000000007924: 0AAAAAFA FF01511B
	v_mul_f32_dpp v86, v27, v86 row_newbcast:2 row_mask:0xf bank_mask:0xf// 00000000792C: 0AACACFA FF01521B
	v_mul_f32_dpp v87, v27, v87 row_newbcast:3 row_mask:0xf bank_mask:0xf// 000000007934: 0AAEAEFA FF01531B
	v_mul_f32_dpp v88, v27, v88 row_newbcast:4 row_mask:0xf bank_mask:0xf// 00000000793C: 0AB0B0FA FF01541B
	v_mul_f32_dpp v89, v27, v89 row_newbcast:5 row_mask:0xf bank_mask:0xf// 000000007944: 0AB2B2FA FF01551B
	v_mul_f32_dpp v90, v27, v90 row_newbcast:6 row_mask:0xf bank_mask:0xf// 00000000794C: 0AB4B4FA FF01561B
	v_mul_f32_dpp v91, v27, v91 row_newbcast:7 row_mask:0xf bank_mask:0xf// 000000007954: 0AB6B6FA FF01571B
	v_mul_f32_dpp v92, v27, v92 row_newbcast:4 row_mask:0xf bank_mask:0xf// 00000000795C: 0AB8B8FA FF01541B
	v_mul_f32_dpp v93, v27, v93 row_newbcast:5 row_mask:0xf bank_mask:0xf// 000000007964: 0ABABAFA FF01551B
	v_mul_f32_dpp v94, v27, v94 row_newbcast:6 row_mask:0xf bank_mask:0xf// 00000000796C: 0ABCBCFA FF01561B
	v_mul_f32_dpp v95, v27, v95 row_newbcast:7 row_mask:0xf bank_mask:0xf// 000000007974: 0ABEBEFA FF01571B
	v_mul_f32_dpp v96, v27, v96 row_newbcast:8 row_mask:0xf bank_mask:0xf// 00000000797C: 0AC0C0FA FF01581B
	v_mul_f32_dpp v97, v27, v97 row_newbcast:9 row_mask:0xf bank_mask:0xf// 000000007984: 0AC2C2FA FF01591B
	v_mul_f32_dpp v98, v27, v98 row_newbcast:10 row_mask:0xf bank_mask:0xf// 00000000798C: 0AC4C4FA FF015A1B
	v_mul_f32_dpp v99, v27, v99 row_newbcast:11 row_mask:0xf bank_mask:0xf// 000000007994: 0AC6C6FA FF015B1B
	v_mul_f32_dpp v100, v27, v100 row_newbcast:8 row_mask:0xf bank_mask:0xf// 00000000799C: 0AC8C8FA FF01581B
	v_mul_f32_dpp v101, v27, v101 row_newbcast:9 row_mask:0xf bank_mask:0xf// 0000000079A4: 0ACACAFA FF01591B
	v_mul_f32_dpp v102, v27, v102 row_newbcast:10 row_mask:0xf bank_mask:0xf// 0000000079AC: 0ACCCCFA FF015A1B
	v_mul_f32_dpp v103, v27, v103 row_newbcast:11 row_mask:0xf bank_mask:0xf// 0000000079B4: 0ACECEFA FF015B1B
	v_mul_f32_dpp v104, v27, v104 row_newbcast:12 row_mask:0xf bank_mask:0xf// 0000000079BC: 0AD0D0FA FF015C1B
	v_mul_f32_dpp v105, v27, v105 row_newbcast:13 row_mask:0xf bank_mask:0xf// 0000000079C4: 0AD2D2FA FF015D1B
	v_mul_f32_dpp v106, v27, v106 row_newbcast:14 row_mask:0xf bank_mask:0xf// 0000000079CC: 0AD4D4FA FF015E1B
	v_mul_f32_dpp v107, v27, v107 row_newbcast:15 row_mask:0xf bank_mask:0xf// 0000000079D4: 0AD6D6FA FF015F1B
	v_mul_f32_dpp v108, v27, v108 row_newbcast:12 row_mask:0xf bank_mask:0xf// 0000000079DC: 0AD8D8FA FF015C1B
	v_mul_f32_dpp v109, v27, v109 row_newbcast:13 row_mask:0xf bank_mask:0xf// 0000000079E4: 0ADADAFA FF015D1B
	v_mul_f32_dpp v110, v27, v110 row_newbcast:14 row_mask:0xf bank_mask:0xf// 0000000079EC: 0ADCDCFA FF015E1B
	v_mul_f32_dpp v111, v27, v111 row_newbcast:15 row_mask:0xf bank_mask:0xf// 0000000079F4: 0ADEDEFA FF015F1B
	v_mul_f32_e32 v32, v32, v112                               // 0000000079FC: 0A40E120
	v_mov_b32_e32 v4, v32                                      // 000000007A00: 7E080320
	v_mov_b32_e32 v5, v4                                       // 000000007A04: 7E0A0304
	v_pk_mul_f32 v[48:49], v[4:5], v[48:49]                    // 000000007A08: D3B14030 18026104
	v_pk_mul_f32 v[80:81], v[4:5], v[80:81]                    // 000000007A10: D3B14050 1802A104
	v_pk_mul_f32 v[50:51], v[4:5], v[50:51]                    // 000000007A18: D3B14032 18026504
	v_pk_mul_f32 v[82:83], v[4:5], v[82:83]                    // 000000007A20: D3B14052 1802A504
	v_pk_mul_f32 v[56:57], v[4:5], v[56:57]                    // 000000007A28: D3B14038 18027104
	v_pk_mul_f32 v[88:89], v[4:5], v[88:89]                    // 000000007A30: D3B14058 1802B104
	v_pk_mul_f32 v[58:59], v[4:5], v[58:59]                    // 000000007A38: D3B1403A 18027504
	v_pk_mul_f32 v[90:91], v[4:5], v[90:91]                    // 000000007A40: D3B1405A 1802B504
	v_pk_mul_f32 v[64:65], v[4:5], v[64:65]                    // 000000007A48: D3B14040 18028104
	v_pk_mul_f32 v[96:97], v[4:5], v[96:97]                    // 000000007A50: D3B14060 1802C104
	v_pk_mul_f32 v[66:67], v[4:5], v[66:67]                    // 000000007A58: D3B14042 18028504
	v_pk_mul_f32 v[98:99], v[4:5], v[98:99]                    // 000000007A60: D3B14062 1802C504
	v_pk_mul_f32 v[72:73], v[4:5], v[72:73]                    // 000000007A68: D3B14048 18029104
	v_pk_mul_f32 v[104:105], v[4:5], v[104:105]                // 000000007A70: D3B14068 1802D104
	v_pk_mul_f32 v[74:75], v[4:5], v[74:75]                    // 000000007A78: D3B1404A 18029504
	v_pk_mul_f32 v[106:107], v[4:5], v[106:107]                // 000000007A80: D3B1406A 1802D504
	v_mul_f32_e32 v33, v33, v113                               // 000000007A88: 0A42E321
	v_mov_b32_e32 v4, v33                                      // 000000007A8C: 7E080321
	v_mov_b32_e32 v5, v4                                       // 000000007A90: 7E0A0304
	v_pk_mul_f32 v[52:53], v[4:5], v[52:53]                    // 000000007A94: D3B14034 18026904
	v_pk_mul_f32 v[84:85], v[4:5], v[84:85]                    // 000000007A9C: D3B14054 1802A904
	v_pk_mul_f32 v[54:55], v[4:5], v[54:55]                    // 000000007AA4: D3B14036 18026D04
	v_pk_mul_f32 v[86:87], v[4:5], v[86:87]                    // 000000007AAC: D3B14056 1802AD04
	v_pk_mul_f32 v[60:61], v[4:5], v[60:61]                    // 000000007AB4: D3B1403C 18027904
	v_pk_mul_f32 v[92:93], v[4:5], v[92:93]                    // 000000007ABC: D3B1405C 1802B904
	v_pk_mul_f32 v[62:63], v[4:5], v[62:63]                    // 000000007AC4: D3B1403E 18027D04
	v_pk_mul_f32 v[94:95], v[4:5], v[94:95]                    // 000000007ACC: D3B1405E 1802BD04
	v_pk_mul_f32 v[68:69], v[4:5], v[68:69]                    // 000000007AD4: D3B14044 18028904
	v_pk_mul_f32 v[100:101], v[4:5], v[100:101]                // 000000007ADC: D3B14064 1802C904
	v_pk_mul_f32 v[70:71], v[4:5], v[70:71]                    // 000000007AE4: D3B14046 18028D04
	v_pk_mul_f32 v[102:103], v[4:5], v[102:103]                // 000000007AEC: D3B14066 1802CD04
	v_pk_mul_f32 v[76:77], v[4:5], v[76:77]                    // 000000007AF4: D3B1404C 18029904
	v_pk_mul_f32 v[108:109], v[4:5], v[108:109]                // 000000007AFC: D3B1406C 1802D904
	v_pk_mul_f32 v[78:79], v[4:5], v[78:79]                    // 000000007B04: D3B1404E 18029D04
	v_pk_mul_f32 v[110:111], v[4:5], v[110:111]                // 000000007B0C: D3B1406E 1802DD04
	s_cmp_eq_u32 s88, 0                                        // 000000007B14: BF068058
	s_cbranch_scc0 label_1873                                  // 000000007B18: BF840429
	s_cmp_eq_u32 s89, 0                                        // 000000007B1C: BF068059
	s_cbranch_scc1 label_1591                                  // 000000007B20: BF850145
	v_mov_b32_e32 v8, v1                                       // 000000007B24: 7E100301
	v_mov_b32_e32 v9, v1                                       // 000000007B28: 7E120301
	s_mov_b32 s60, s6                                          // 000000007B2C: BEBC0006
	s_mov_b32 s61, s6                                          // 000000007B30: BEBD0006
	v_pk_mul_f32 v[4:5], v[48:49], v[48:49]                    // 000000007B34: D3B14004 18026130
	v_pk_mul_f32 v[6:7], v[50:51], v[50:51]                    // 000000007B3C: D3B14006 18026532
	v_pk_fma_f32 v[4:5], v[4:5], s[78:79], v[8:9]              // 000000007B44: D3B04004 1C209D04
	v_pk_fma_f32 v[6:7], v[6:7], s[78:79], v[8:9]              // 000000007B4C: D3B04006 1C209D06
	v_pk_mul_f32 v[4:5], v[4:5], v[48:49]                      // 000000007B54: D3B14004 18026104
	v_pk_mul_f32 v[6:7], v[6:7], v[50:51]                      // 000000007B5C: D3B14006 18026506
	v_pk_mul_f32 v[4:5], v[4:5], s[60:61]                      // 000000007B64: D3B14004 18007904
	v_pk_mul_f32 v[6:7], v[6:7], s[60:61]                      // 000000007B6C: D3B14006 18007906
	v_exp_f32_e32 v4, v4                                       // 000000007B74: 7E084104
	v_exp_f32_e32 v5, v5                                       // 000000007B78: 7E0A4105
	v_exp_f32_e32 v6, v6                                       // 000000007B7C: 7E0C4106
	v_exp_f32_e32 v7, v7                                       // 000000007B80: 7E0E4107
	v_add_f32_e64 v4, v4, 1.0                                  // 000000007B84: D1010004 0001E504
	v_add_f32_e64 v5, v5, 1.0                                  // 000000007B8C: D1010005 0001E505
	v_add_f32_e64 v6, v6, 1.0                                  // 000000007B94: D1010006 0001E506
	v_add_f32_e64 v7, v7, 1.0                                  // 000000007B9C: D1010007 0001E507
	v_rcp_f32_e32 v4, v4                                       // 000000007BA4: 7E084504
	v_rcp_f32_e32 v5, v5                                       // 000000007BA8: 7E0A4505
	v_rcp_f32_e32 v6, v6                                       // 000000007BAC: 7E0C4506
	v_rcp_f32_e32 v7, v7                                       // 000000007BB0: 7E0E4507
	v_mul_f32_e32 v48, v48, v4                                 // 000000007BB4: 0A600930
	v_mul_f32_e32 v49, v49, v5                                 // 000000007BB8: 0A620B31
	v_mul_f32_e32 v50, v50, v6                                 // 000000007BBC: 0A640D32
	v_mul_f32_e32 v51, v51, v7                                 // 000000007BC0: 0A660F33
	v_mul_f32_e32 v48, v48, v80                                // 000000007BC4: 0A60A130
	v_mul_f32_e32 v49, v49, v81                                // 000000007BC8: 0A62A331
	v_mul_f32_e32 v50, v50, v82                                // 000000007BCC: 0A64A532
	v_mul_f32_e32 v51, v51, v83                                // 000000007BD0: 0A66A733
	v_pk_mul_f32 v[4:5], v[52:53], v[52:53]                    // 000000007BD4: D3B14004 18026934
	v_pk_mul_f32 v[6:7], v[54:55], v[54:55]                    // 000000007BDC: D3B14006 18026D36
	v_pk_fma_f32 v[4:5], v[4:5], s[78:79], v[8:9]              // 000000007BE4: D3B04004 1C209D04
	v_pk_fma_f32 v[6:7], v[6:7], s[78:79], v[8:9]              // 000000007BEC: D3B04006 1C209D06
	v_pk_mul_f32 v[4:5], v[4:5], v[52:53]                      // 000000007BF4: D3B14004 18026904
	v_pk_mul_f32 v[6:7], v[6:7], v[54:55]                      // 000000007BFC: D3B14006 18026D06
	v_pk_mul_f32 v[4:5], v[4:5], s[60:61]                      // 000000007C04: D3B14004 18007904
	v_pk_mul_f32 v[6:7], v[6:7], s[60:61]                      // 000000007C0C: D3B14006 18007906
	v_exp_f32_e32 v4, v4                                       // 000000007C14: 7E084104
	v_exp_f32_e32 v5, v5                                       // 000000007C18: 7E0A4105
	v_exp_f32_e32 v6, v6                                       // 000000007C1C: 7E0C4106
	v_exp_f32_e32 v7, v7                                       // 000000007C20: 7E0E4107
	v_add_f32_e64 v4, v4, 1.0                                  // 000000007C24: D1010004 0001E504
	v_add_f32_e64 v5, v5, 1.0                                  // 000000007C2C: D1010005 0001E505
	v_add_f32_e64 v6, v6, 1.0                                  // 000000007C34: D1010006 0001E506
	v_add_f32_e64 v7, v7, 1.0                                  // 000000007C3C: D1010007 0001E507
	v_rcp_f32_e32 v4, v4                                       // 000000007C44: 7E084504
	v_rcp_f32_e32 v5, v5                                       // 000000007C48: 7E0A4505
	v_rcp_f32_e32 v6, v6                                       // 000000007C4C: 7E0C4506
	v_rcp_f32_e32 v7, v7                                       // 000000007C50: 7E0E4507
	v_mul_f32_e32 v52, v52, v4                                 // 000000007C54: 0A680934
	v_mul_f32_e32 v53, v53, v5                                 // 000000007C58: 0A6A0B35
	v_mul_f32_e32 v54, v54, v6                                 // 000000007C5C: 0A6C0D36
	v_mul_f32_e32 v55, v55, v7                                 // 000000007C60: 0A6E0F37
	v_mul_f32_e32 v52, v52, v84                                // 000000007C64: 0A68A934
	v_mul_f32_e32 v53, v53, v85                                // 000000007C68: 0A6AAB35
	v_mul_f32_e32 v54, v54, v86                                // 000000007C6C: 0A6CAD36
	v_mul_f32_e32 v55, v55, v87                                // 000000007C70: 0A6EAF37
	v_pk_mul_f32 v[4:5], v[56:57], v[56:57]                    // 000000007C74: D3B14004 18027138
	v_pk_mul_f32 v[6:7], v[58:59], v[58:59]                    // 000000007C7C: D3B14006 1802753A
	v_pk_fma_f32 v[4:5], v[4:5], s[78:79], v[8:9]              // 000000007C84: D3B04004 1C209D04
	v_pk_fma_f32 v[6:7], v[6:7], s[78:79], v[8:9]              // 000000007C8C: D3B04006 1C209D06
	v_pk_mul_f32 v[4:5], v[4:5], v[56:57]                      // 000000007C94: D3B14004 18027104
	v_pk_mul_f32 v[6:7], v[6:7], v[58:59]                      // 000000007C9C: D3B14006 18027506
	v_pk_mul_f32 v[4:5], v[4:5], s[60:61]                      // 000000007CA4: D3B14004 18007904
	v_pk_mul_f32 v[6:7], v[6:7], s[60:61]                      // 000000007CAC: D3B14006 18007906
	v_exp_f32_e32 v4, v4                                       // 000000007CB4: 7E084104
	v_exp_f32_e32 v5, v5                                       // 000000007CB8: 7E0A4105
	v_exp_f32_e32 v6, v6                                       // 000000007CBC: 7E0C4106
	v_exp_f32_e32 v7, v7                                       // 000000007CC0: 7E0E4107
	v_add_f32_e64 v4, v4, 1.0                                  // 000000007CC4: D1010004 0001E504
	v_add_f32_e64 v5, v5, 1.0                                  // 000000007CCC: D1010005 0001E505
	v_add_f32_e64 v6, v6, 1.0                                  // 000000007CD4: D1010006 0001E506
	v_add_f32_e64 v7, v7, 1.0                                  // 000000007CDC: D1010007 0001E507
	v_rcp_f32_e32 v4, v4                                       // 000000007CE4: 7E084504
	v_rcp_f32_e32 v5, v5                                       // 000000007CE8: 7E0A4505
	v_rcp_f32_e32 v6, v6                                       // 000000007CEC: 7E0C4506
	v_rcp_f32_e32 v7, v7                                       // 000000007CF0: 7E0E4507
	v_mul_f32_e32 v56, v56, v4                                 // 000000007CF4: 0A700938
	v_mul_f32_e32 v57, v57, v5                                 // 000000007CF8: 0A720B39
	v_mul_f32_e32 v58, v58, v6                                 // 000000007CFC: 0A740D3A
	v_mul_f32_e32 v59, v59, v7                                 // 000000007D00: 0A760F3B
	v_mul_f32_e32 v56, v56, v88                                // 000000007D04: 0A70B138
	v_mul_f32_e32 v57, v57, v89                                // 000000007D08: 0A72B339
	v_mul_f32_e32 v58, v58, v90                                // 000000007D0C: 0A74B53A
	v_mul_f32_e32 v59, v59, v91                                // 000000007D10: 0A76B73B
	v_pk_mul_f32 v[4:5], v[60:61], v[60:61]                    // 000000007D14: D3B14004 1802793C
	v_pk_mul_f32 v[6:7], v[62:63], v[62:63]                    // 000000007D1C: D3B14006 18027D3E
	v_pk_fma_f32 v[4:5], v[4:5], s[78:79], v[8:9]              // 000000007D24: D3B04004 1C209D04
	v_pk_fma_f32 v[6:7], v[6:7], s[78:79], v[8:9]              // 000000007D2C: D3B04006 1C209D06
	v_pk_mul_f32 v[4:5], v[4:5], v[60:61]                      // 000000007D34: D3B14004 18027904
	v_pk_mul_f32 v[6:7], v[6:7], v[62:63]                      // 000000007D3C: D3B14006 18027D06
	v_pk_mul_f32 v[4:5], v[4:5], s[60:61]                      // 000000007D44: D3B14004 18007904
	v_pk_mul_f32 v[6:7], v[6:7], s[60:61]                      // 000000007D4C: D3B14006 18007906
	v_exp_f32_e32 v4, v4                                       // 000000007D54: 7E084104
	v_exp_f32_e32 v5, v5                                       // 000000007D58: 7E0A4105
	v_exp_f32_e32 v6, v6                                       // 000000007D5C: 7E0C4106
	v_exp_f32_e32 v7, v7                                       // 000000007D60: 7E0E4107
	v_add_f32_e64 v4, v4, 1.0                                  // 000000007D64: D1010004 0001E504
	v_add_f32_e64 v5, v5, 1.0                                  // 000000007D6C: D1010005 0001E505
	v_add_f32_e64 v6, v6, 1.0                                  // 000000007D74: D1010006 0001E506
	v_add_f32_e64 v7, v7, 1.0                                  // 000000007D7C: D1010007 0001E507
	v_rcp_f32_e32 v4, v4                                       // 000000007D84: 7E084504
	v_rcp_f32_e32 v5, v5                                       // 000000007D88: 7E0A4505
	v_rcp_f32_e32 v6, v6                                       // 000000007D8C: 7E0C4506
	v_rcp_f32_e32 v7, v7                                       // 000000007D90: 7E0E4507
	v_mul_f32_e32 v60, v60, v4                                 // 000000007D94: 0A78093C
	v_mul_f32_e32 v61, v61, v5                                 // 000000007D98: 0A7A0B3D
	v_mul_f32_e32 v62, v62, v6                                 // 000000007D9C: 0A7C0D3E
	v_mul_f32_e32 v63, v63, v7                                 // 000000007DA0: 0A7E0F3F
	v_mul_f32_e32 v60, v60, v92                                // 000000007DA4: 0A78B93C
	v_mul_f32_e32 v61, v61, v93                                // 000000007DA8: 0A7ABB3D
	v_mul_f32_e32 v62, v62, v94                                // 000000007DAC: 0A7CBD3E
	v_mul_f32_e32 v63, v63, v95                                // 000000007DB0: 0A7EBF3F
	v_pk_mul_f32 v[4:5], v[64:65], v[64:65]                    // 000000007DB4: D3B14004 18028140
	v_pk_mul_f32 v[6:7], v[66:67], v[66:67]                    // 000000007DBC: D3B14006 18028542
	v_pk_fma_f32 v[4:5], v[4:5], s[78:79], v[8:9]              // 000000007DC4: D3B04004 1C209D04
	v_pk_fma_f32 v[6:7], v[6:7], s[78:79], v[8:9]              // 000000007DCC: D3B04006 1C209D06
	v_pk_mul_f32 v[4:5], v[4:5], v[64:65]                      // 000000007DD4: D3B14004 18028104
	v_pk_mul_f32 v[6:7], v[6:7], v[66:67]                      // 000000007DDC: D3B14006 18028506
	v_pk_mul_f32 v[4:5], v[4:5], s[60:61]                      // 000000007DE4: D3B14004 18007904
	v_pk_mul_f32 v[6:7], v[6:7], s[60:61]                      // 000000007DEC: D3B14006 18007906
	v_exp_f32_e32 v4, v4                                       // 000000007DF4: 7E084104
	v_exp_f32_e32 v5, v5                                       // 000000007DF8: 7E0A4105
	v_exp_f32_e32 v6, v6                                       // 000000007DFC: 7E0C4106
	v_exp_f32_e32 v7, v7                                       // 000000007E00: 7E0E4107
	v_add_f32_e64 v4, v4, 1.0                                  // 000000007E04: D1010004 0001E504
	v_add_f32_e64 v5, v5, 1.0                                  // 000000007E0C: D1010005 0001E505
	v_add_f32_e64 v6, v6, 1.0                                  // 000000007E14: D1010006 0001E506
	v_add_f32_e64 v7, v7, 1.0                                  // 000000007E1C: D1010007 0001E507
	v_rcp_f32_e32 v4, v4                                       // 000000007E24: 7E084504
	v_rcp_f32_e32 v5, v5                                       // 000000007E28: 7E0A4505
	v_rcp_f32_e32 v6, v6                                       // 000000007E2C: 7E0C4506
	v_rcp_f32_e32 v7, v7                                       // 000000007E30: 7E0E4507
	v_mul_f32_e32 v64, v64, v4                                 // 000000007E34: 0A800940
	v_mul_f32_e32 v65, v65, v5                                 // 000000007E38: 0A820B41
	v_mul_f32_e32 v66, v66, v6                                 // 000000007E3C: 0A840D42
	v_mul_f32_e32 v67, v67, v7                                 // 000000007E40: 0A860F43
	v_mul_f32_e32 v64, v64, v96                                // 000000007E44: 0A80C140
	v_mul_f32_e32 v65, v65, v97                                // 000000007E48: 0A82C341
	v_mul_f32_e32 v66, v66, v98                                // 000000007E4C: 0A84C542
	v_mul_f32_e32 v67, v67, v99                                // 000000007E50: 0A86C743
	v_pk_mul_f32 v[4:5], v[68:69], v[68:69]                    // 000000007E54: D3B14004 18028944
	v_pk_mul_f32 v[6:7], v[70:71], v[70:71]                    // 000000007E5C: D3B14006 18028D46
	v_pk_fma_f32 v[4:5], v[4:5], s[78:79], v[8:9]              // 000000007E64: D3B04004 1C209D04
	v_pk_fma_f32 v[6:7], v[6:7], s[78:79], v[8:9]              // 000000007E6C: D3B04006 1C209D06
	v_pk_mul_f32 v[4:5], v[4:5], v[68:69]                      // 000000007E74: D3B14004 18028904
	v_pk_mul_f32 v[6:7], v[6:7], v[70:71]                      // 000000007E7C: D3B14006 18028D06
	v_pk_mul_f32 v[4:5], v[4:5], s[60:61]                      // 000000007E84: D3B14004 18007904
	v_pk_mul_f32 v[6:7], v[6:7], s[60:61]                      // 000000007E8C: D3B14006 18007906
	v_exp_f32_e32 v4, v4                                       // 000000007E94: 7E084104
	v_exp_f32_e32 v5, v5                                       // 000000007E98: 7E0A4105
	v_exp_f32_e32 v6, v6                                       // 000000007E9C: 7E0C4106
	v_exp_f32_e32 v7, v7                                       // 000000007EA0: 7E0E4107
	v_add_f32_e64 v4, v4, 1.0                                  // 000000007EA4: D1010004 0001E504
	v_add_f32_e64 v5, v5, 1.0                                  // 000000007EAC: D1010005 0001E505
	v_add_f32_e64 v6, v6, 1.0                                  // 000000007EB4: D1010006 0001E506
	v_add_f32_e64 v7, v7, 1.0                                  // 000000007EBC: D1010007 0001E507
	v_rcp_f32_e32 v4, v4                                       // 000000007EC4: 7E084504
	v_rcp_f32_e32 v5, v5                                       // 000000007EC8: 7E0A4505
	v_rcp_f32_e32 v6, v6                                       // 000000007ECC: 7E0C4506
	v_rcp_f32_e32 v7, v7                                       // 000000007ED0: 7E0E4507
	v_mul_f32_e32 v68, v68, v4                                 // 000000007ED4: 0A880944
	v_mul_f32_e32 v69, v69, v5                                 // 000000007ED8: 0A8A0B45
	v_mul_f32_e32 v70, v70, v6                                 // 000000007EDC: 0A8C0D46
	v_mul_f32_e32 v71, v71, v7                                 // 000000007EE0: 0A8E0F47
	v_mul_f32_e32 v68, v68, v100                               // 000000007EE4: 0A88C944
	v_mul_f32_e32 v69, v69, v101                               // 000000007EE8: 0A8ACB45
	v_mul_f32_e32 v70, v70, v102                               // 000000007EEC: 0A8CCD46
	v_mul_f32_e32 v71, v71, v103                               // 000000007EF0: 0A8ECF47
	v_pk_mul_f32 v[4:5], v[72:73], v[72:73]                    // 000000007EF4: D3B14004 18029148
	v_pk_mul_f32 v[6:7], v[74:75], v[74:75]                    // 000000007EFC: D3B14006 1802954A
	v_pk_fma_f32 v[4:5], v[4:5], s[78:79], v[8:9]              // 000000007F04: D3B04004 1C209D04
	v_pk_fma_f32 v[6:7], v[6:7], s[78:79], v[8:9]              // 000000007F0C: D3B04006 1C209D06
	v_pk_mul_f32 v[4:5], v[4:5], v[72:73]                      // 000000007F14: D3B14004 18029104
	v_pk_mul_f32 v[6:7], v[6:7], v[74:75]                      // 000000007F1C: D3B14006 18029506
	v_pk_mul_f32 v[4:5], v[4:5], s[60:61]                      // 000000007F24: D3B14004 18007904
	v_pk_mul_f32 v[6:7], v[6:7], s[60:61]                      // 000000007F2C: D3B14006 18007906
	v_exp_f32_e32 v4, v4                                       // 000000007F34: 7E084104
	v_exp_f32_e32 v5, v5                                       // 000000007F38: 7E0A4105
	v_exp_f32_e32 v6, v6                                       // 000000007F3C: 7E0C4106
	v_exp_f32_e32 v7, v7                                       // 000000007F40: 7E0E4107
	v_add_f32_e64 v4, v4, 1.0                                  // 000000007F44: D1010004 0001E504
	v_add_f32_e64 v5, v5, 1.0                                  // 000000007F4C: D1010005 0001E505
	v_add_f32_e64 v6, v6, 1.0                                  // 000000007F54: D1010006 0001E506
	v_add_f32_e64 v7, v7, 1.0                                  // 000000007F5C: D1010007 0001E507
	v_rcp_f32_e32 v4, v4                                       // 000000007F64: 7E084504
	v_rcp_f32_e32 v5, v5                                       // 000000007F68: 7E0A4505
	v_rcp_f32_e32 v6, v6                                       // 000000007F6C: 7E0C4506
	v_rcp_f32_e32 v7, v7                                       // 000000007F70: 7E0E4507
	v_mul_f32_e32 v72, v72, v4                                 // 000000007F74: 0A900948
	v_mul_f32_e32 v73, v73, v5                                 // 000000007F78: 0A920B49
	v_mul_f32_e32 v74, v74, v6                                 // 000000007F7C: 0A940D4A
	v_mul_f32_e32 v75, v75, v7                                 // 000000007F80: 0A960F4B
	v_mul_f32_e32 v72, v72, v104                               // 000000007F84: 0A90D148
	v_mul_f32_e32 v73, v73, v105                               // 000000007F88: 0A92D349
	v_mul_f32_e32 v74, v74, v106                               // 000000007F8C: 0A94D54A
	v_mul_f32_e32 v75, v75, v107                               // 000000007F90: 0A96D74B
	v_pk_mul_f32 v[4:5], v[76:77], v[76:77]                    // 000000007F94: D3B14004 1802994C
	v_pk_mul_f32 v[6:7], v[78:79], v[78:79]                    // 000000007F9C: D3B14006 18029D4E
	v_pk_fma_f32 v[4:5], v[4:5], s[78:79], v[8:9]              // 000000007FA4: D3B04004 1C209D04
	v_pk_fma_f32 v[6:7], v[6:7], s[78:79], v[8:9]              // 000000007FAC: D3B04006 1C209D06
	v_pk_mul_f32 v[4:5], v[4:5], v[76:77]                      // 000000007FB4: D3B14004 18029904
	v_pk_mul_f32 v[6:7], v[6:7], v[78:79]                      // 000000007FBC: D3B14006 18029D06
	v_pk_mul_f32 v[4:5], v[4:5], s[60:61]                      // 000000007FC4: D3B14004 18007904
	v_pk_mul_f32 v[6:7], v[6:7], s[60:61]                      // 000000007FCC: D3B14006 18007906
	v_exp_f32_e32 v4, v4                                       // 000000007FD4: 7E084104
	v_exp_f32_e32 v5, v5                                       // 000000007FD8: 7E0A4105
	v_exp_f32_e32 v6, v6                                       // 000000007FDC: 7E0C4106
	v_exp_f32_e32 v7, v7                                       // 000000007FE0: 7E0E4107
	v_add_f32_e64 v4, v4, 1.0                                  // 000000007FE4: D1010004 0001E504
	v_add_f32_e64 v5, v5, 1.0                                  // 000000007FEC: D1010005 0001E505
	v_add_f32_e64 v6, v6, 1.0                                  // 000000007FF4: D1010006 0001E506
	v_add_f32_e64 v7, v7, 1.0                                  // 000000007FFC: D1010007 0001E507
	v_rcp_f32_e32 v4, v4                                       // 000000008004: 7E084504
	v_rcp_f32_e32 v5, v5                                       // 000000008008: 7E0A4505
	v_rcp_f32_e32 v6, v6                                       // 00000000800C: 7E0C4506
	v_rcp_f32_e32 v7, v7                                       // 000000008010: 7E0E4507
	v_mul_f32_e32 v76, v76, v4                                 // 000000008014: 0A98094C
	v_mul_f32_e32 v77, v77, v5                                 // 000000008018: 0A9A0B4D
	v_mul_f32_e32 v78, v78, v6                                 // 00000000801C: 0A9C0D4E
	v_mul_f32_e32 v79, v79, v7                                 // 000000008020: 0A9E0F4F
	v_mul_f32_e32 v76, v76, v108                               // 000000008024: 0A98D94C
	v_mul_f32_e32 v77, v77, v109                               // 000000008028: 0A9ADB4D
	v_mul_f32_e32 v78, v78, v110                               // 00000000802C: 0A9CDD4E
	v_mul_f32_e32 v79, v79, v111                               // 000000008030: 0A9EDF4F
	s_branch label_1691                                        // 000000008034: BF820100

0000000000008038 <label_1591>:
	v_mul_f32_e64 v4, -v48, s6                                 // 000000008038: D1050004 20000D30
	v_mul_f32_e64 v5, -v49, s6                                 // 000000008040: D1050005 20000D31
	v_mul_f32_e64 v6, -v50, s6                                 // 000000008048: D1050006 20000D32
	v_mul_f32_e64 v7, -v51, s6                                 // 000000008050: D1050007 20000D33
	v_exp_f32_e32 v4, v4                                       // 000000008058: 7E084104
	v_exp_f32_e32 v5, v5                                       // 00000000805C: 7E0A4105
	v_exp_f32_e32 v6, v6                                       // 000000008060: 7E0C4106
	v_exp_f32_e32 v7, v7                                       // 000000008064: 7E0E4107
	v_add_f32_e64 v4, v4, 1.0                                  // 000000008068: D1010004 0001E504
	v_add_f32_e64 v5, v5, 1.0                                  // 000000008070: D1010005 0001E505
	v_add_f32_e64 v6, v6, 1.0                                  // 000000008078: D1010006 0001E506
	v_add_f32_e64 v7, v7, 1.0                                  // 000000008080: D1010007 0001E507
	v_rcp_f32_e32 v4, v4                                       // 000000008088: 7E084504
	v_rcp_f32_e32 v5, v5                                       // 00000000808C: 7E0A4505
	v_rcp_f32_e32 v6, v6                                       // 000000008090: 7E0C4506
	v_rcp_f32_e32 v7, v7                                       // 000000008094: 7E0E4507
	v_mul_f32_e32 v48, v48, v4                                 // 000000008098: 0A600930
	v_mul_f32_e32 v49, v49, v5                                 // 00000000809C: 0A620B31
	v_mul_f32_e32 v50, v50, v6                                 // 0000000080A0: 0A640D32
	v_mul_f32_e32 v51, v51, v7                                 // 0000000080A4: 0A660F33
	v_mul_f32_e32 v48, v48, v80                                // 0000000080A8: 0A60A130
	v_mul_f32_e32 v49, v49, v81                                // 0000000080AC: 0A62A331
	v_mul_f32_e32 v50, v50, v82                                // 0000000080B0: 0A64A532
	v_mul_f32_e32 v51, v51, v83                                // 0000000080B4: 0A66A733
	v_mul_f32_e64 v4, -v52, s6                                 // 0000000080B8: D1050004 20000D34
	v_mul_f32_e64 v5, -v53, s6                                 // 0000000080C0: D1050005 20000D35
	v_mul_f32_e64 v6, -v54, s6                                 // 0000000080C8: D1050006 20000D36
	v_mul_f32_e64 v7, -v55, s6                                 // 0000000080D0: D1050007 20000D37
	v_exp_f32_e32 v4, v4                                       // 0000000080D8: 7E084104
	v_exp_f32_e32 v5, v5                                       // 0000000080DC: 7E0A4105
	v_exp_f32_e32 v6, v6                                       // 0000000080E0: 7E0C4106
	v_exp_f32_e32 v7, v7                                       // 0000000080E4: 7E0E4107
	v_add_f32_e64 v4, v4, 1.0                                  // 0000000080E8: D1010004 0001E504
	v_add_f32_e64 v5, v5, 1.0                                  // 0000000080F0: D1010005 0001E505
	v_add_f32_e64 v6, v6, 1.0                                  // 0000000080F8: D1010006 0001E506
	v_add_f32_e64 v7, v7, 1.0                                  // 000000008100: D1010007 0001E507
	v_rcp_f32_e32 v4, v4                                       // 000000008108: 7E084504
	v_rcp_f32_e32 v5, v5                                       // 00000000810C: 7E0A4505
	v_rcp_f32_e32 v6, v6                                       // 000000008110: 7E0C4506
	v_rcp_f32_e32 v7, v7                                       // 000000008114: 7E0E4507
	v_mul_f32_e32 v52, v52, v4                                 // 000000008118: 0A680934
	v_mul_f32_e32 v53, v53, v5                                 // 00000000811C: 0A6A0B35
	v_mul_f32_e32 v54, v54, v6                                 // 000000008120: 0A6C0D36
	v_mul_f32_e32 v55, v55, v7                                 // 000000008124: 0A6E0F37
	v_mul_f32_e32 v52, v52, v84                                // 000000008128: 0A68A934
	v_mul_f32_e32 v53, v53, v85                                // 00000000812C: 0A6AAB35
	v_mul_f32_e32 v54, v54, v86                                // 000000008130: 0A6CAD36
	v_mul_f32_e32 v55, v55, v87                                // 000000008134: 0A6EAF37
	v_mul_f32_e64 v4, -v56, s6                                 // 000000008138: D1050004 20000D38
	v_mul_f32_e64 v5, -v57, s6                                 // 000000008140: D1050005 20000D39
	v_mul_f32_e64 v6, -v58, s6                                 // 000000008148: D1050006 20000D3A
	v_mul_f32_e64 v7, -v59, s6                                 // 000000008150: D1050007 20000D3B
	v_exp_f32_e32 v4, v4                                       // 000000008158: 7E084104
	v_exp_f32_e32 v5, v5                                       // 00000000815C: 7E0A4105
	v_exp_f32_e32 v6, v6                                       // 000000008160: 7E0C4106
	v_exp_f32_e32 v7, v7                                       // 000000008164: 7E0E4107
	v_add_f32_e64 v4, v4, 1.0                                  // 000000008168: D1010004 0001E504
	v_add_f32_e64 v5, v5, 1.0                                  // 000000008170: D1010005 0001E505
	v_add_f32_e64 v6, v6, 1.0                                  // 000000008178: D1010006 0001E506
	v_add_f32_e64 v7, v7, 1.0                                  // 000000008180: D1010007 0001E507
	v_rcp_f32_e32 v4, v4                                       // 000000008188: 7E084504
	v_rcp_f32_e32 v5, v5                                       // 00000000818C: 7E0A4505
	v_rcp_f32_e32 v6, v6                                       // 000000008190: 7E0C4506
	v_rcp_f32_e32 v7, v7                                       // 000000008194: 7E0E4507
	v_mul_f32_e32 v56, v56, v4                                 // 000000008198: 0A700938
	v_mul_f32_e32 v57, v57, v5                                 // 00000000819C: 0A720B39
	v_mul_f32_e32 v58, v58, v6                                 // 0000000081A0: 0A740D3A
	v_mul_f32_e32 v59, v59, v7                                 // 0000000081A4: 0A760F3B
	v_mul_f32_e32 v56, v56, v88                                // 0000000081A8: 0A70B138
	v_mul_f32_e32 v57, v57, v89                                // 0000000081AC: 0A72B339
	v_mul_f32_e32 v58, v58, v90                                // 0000000081B0: 0A74B53A
	v_mul_f32_e32 v59, v59, v91                                // 0000000081B4: 0A76B73B
	v_mul_f32_e64 v4, -v60, s6                                 // 0000000081B8: D1050004 20000D3C
	v_mul_f32_e64 v5, -v61, s6                                 // 0000000081C0: D1050005 20000D3D
	v_mul_f32_e64 v6, -v62, s6                                 // 0000000081C8: D1050006 20000D3E
	v_mul_f32_e64 v7, -v63, s6                                 // 0000000081D0: D1050007 20000D3F
	v_exp_f32_e32 v4, v4                                       // 0000000081D8: 7E084104
	v_exp_f32_e32 v5, v5                                       // 0000000081DC: 7E0A4105
	v_exp_f32_e32 v6, v6                                       // 0000000081E0: 7E0C4106
	v_exp_f32_e32 v7, v7                                       // 0000000081E4: 7E0E4107
	v_add_f32_e64 v4, v4, 1.0                                  // 0000000081E8: D1010004 0001E504
	v_add_f32_e64 v5, v5, 1.0                                  // 0000000081F0: D1010005 0001E505
	v_add_f32_e64 v6, v6, 1.0                                  // 0000000081F8: D1010006 0001E506
	v_add_f32_e64 v7, v7, 1.0                                  // 000000008200: D1010007 0001E507
	v_rcp_f32_e32 v4, v4                                       // 000000008208: 7E084504
	v_rcp_f32_e32 v5, v5                                       // 00000000820C: 7E0A4505
	v_rcp_f32_e32 v6, v6                                       // 000000008210: 7E0C4506
	v_rcp_f32_e32 v7, v7                                       // 000000008214: 7E0E4507
	v_mul_f32_e32 v60, v60, v4                                 // 000000008218: 0A78093C
	v_mul_f32_e32 v61, v61, v5                                 // 00000000821C: 0A7A0B3D
	v_mul_f32_e32 v62, v62, v6                                 // 000000008220: 0A7C0D3E
	v_mul_f32_e32 v63, v63, v7                                 // 000000008224: 0A7E0F3F
	v_mul_f32_e32 v60, v60, v92                                // 000000008228: 0A78B93C
	v_mul_f32_e32 v61, v61, v93                                // 00000000822C: 0A7ABB3D
	v_mul_f32_e32 v62, v62, v94                                // 000000008230: 0A7CBD3E
	v_mul_f32_e32 v63, v63, v95                                // 000000008234: 0A7EBF3F
	v_mul_f32_e64 v4, -v64, s6                                 // 000000008238: D1050004 20000D40
	v_mul_f32_e64 v5, -v65, s6                                 // 000000008240: D1050005 20000D41
	v_mul_f32_e64 v6, -v66, s6                                 // 000000008248: D1050006 20000D42
	v_mul_f32_e64 v7, -v67, s6                                 // 000000008250: D1050007 20000D43
	v_exp_f32_e32 v4, v4                                       // 000000008258: 7E084104
	v_exp_f32_e32 v5, v5                                       // 00000000825C: 7E0A4105
	v_exp_f32_e32 v6, v6                                       // 000000008260: 7E0C4106
	v_exp_f32_e32 v7, v7                                       // 000000008264: 7E0E4107
	v_add_f32_e64 v4, v4, 1.0                                  // 000000008268: D1010004 0001E504
	v_add_f32_e64 v5, v5, 1.0                                  // 000000008270: D1010005 0001E505
	v_add_f32_e64 v6, v6, 1.0                                  // 000000008278: D1010006 0001E506
	v_add_f32_e64 v7, v7, 1.0                                  // 000000008280: D1010007 0001E507
	v_rcp_f32_e32 v4, v4                                       // 000000008288: 7E084504
	v_rcp_f32_e32 v5, v5                                       // 00000000828C: 7E0A4505
	v_rcp_f32_e32 v6, v6                                       // 000000008290: 7E0C4506
	v_rcp_f32_e32 v7, v7                                       // 000000008294: 7E0E4507
	v_mul_f32_e32 v64, v64, v4                                 // 000000008298: 0A800940
	v_mul_f32_e32 v65, v65, v5                                 // 00000000829C: 0A820B41
	v_mul_f32_e32 v66, v66, v6                                 // 0000000082A0: 0A840D42
	v_mul_f32_e32 v67, v67, v7                                 // 0000000082A4: 0A860F43
	v_mul_f32_e32 v64, v64, v96                                // 0000000082A8: 0A80C140
	v_mul_f32_e32 v65, v65, v97                                // 0000000082AC: 0A82C341
	v_mul_f32_e32 v66, v66, v98                                // 0000000082B0: 0A84C542
	v_mul_f32_e32 v67, v67, v99                                // 0000000082B4: 0A86C743
	v_mul_f32_e64 v4, -v68, s6                                 // 0000000082B8: D1050004 20000D44
	v_mul_f32_e64 v5, -v69, s6                                 // 0000000082C0: D1050005 20000D45
	v_mul_f32_e64 v6, -v70, s6                                 // 0000000082C8: D1050006 20000D46
	v_mul_f32_e64 v7, -v71, s6                                 // 0000000082D0: D1050007 20000D47
	v_exp_f32_e32 v4, v4                                       // 0000000082D8: 7E084104
	v_exp_f32_e32 v5, v5                                       // 0000000082DC: 7E0A4105
	v_exp_f32_e32 v6, v6                                       // 0000000082E0: 7E0C4106
	v_exp_f32_e32 v7, v7                                       // 0000000082E4: 7E0E4107
	v_add_f32_e64 v4, v4, 1.0                                  // 0000000082E8: D1010004 0001E504
	v_add_f32_e64 v5, v5, 1.0                                  // 0000000082F0: D1010005 0001E505
	v_add_f32_e64 v6, v6, 1.0                                  // 0000000082F8: D1010006 0001E506
	v_add_f32_e64 v7, v7, 1.0                                  // 000000008300: D1010007 0001E507
	v_rcp_f32_e32 v4, v4                                       // 000000008308: 7E084504
	v_rcp_f32_e32 v5, v5                                       // 00000000830C: 7E0A4505
	v_rcp_f32_e32 v6, v6                                       // 000000008310: 7E0C4506
	v_rcp_f32_e32 v7, v7                                       // 000000008314: 7E0E4507
	v_mul_f32_e32 v68, v68, v4                                 // 000000008318: 0A880944
	v_mul_f32_e32 v69, v69, v5                                 // 00000000831C: 0A8A0B45
	v_mul_f32_e32 v70, v70, v6                                 // 000000008320: 0A8C0D46
	v_mul_f32_e32 v71, v71, v7                                 // 000000008324: 0A8E0F47
	v_mul_f32_e32 v68, v68, v100                               // 000000008328: 0A88C944
	v_mul_f32_e32 v69, v69, v101                               // 00000000832C: 0A8ACB45
	v_mul_f32_e32 v70, v70, v102                               // 000000008330: 0A8CCD46
	v_mul_f32_e32 v71, v71, v103                               // 000000008334: 0A8ECF47
	v_mul_f32_e64 v4, -v72, s6                                 // 000000008338: D1050004 20000D48
	v_mul_f32_e64 v5, -v73, s6                                 // 000000008340: D1050005 20000D49
	v_mul_f32_e64 v6, -v74, s6                                 // 000000008348: D1050006 20000D4A
	v_mul_f32_e64 v7, -v75, s6                                 // 000000008350: D1050007 20000D4B
	v_exp_f32_e32 v4, v4                                       // 000000008358: 7E084104
	v_exp_f32_e32 v5, v5                                       // 00000000835C: 7E0A4105
	v_exp_f32_e32 v6, v6                                       // 000000008360: 7E0C4106
	v_exp_f32_e32 v7, v7                                       // 000000008364: 7E0E4107
	v_add_f32_e64 v4, v4, 1.0                                  // 000000008368: D1010004 0001E504
	v_add_f32_e64 v5, v5, 1.0                                  // 000000008370: D1010005 0001E505
	v_add_f32_e64 v6, v6, 1.0                                  // 000000008378: D1010006 0001E506
	v_add_f32_e64 v7, v7, 1.0                                  // 000000008380: D1010007 0001E507
	v_rcp_f32_e32 v4, v4                                       // 000000008388: 7E084504
	v_rcp_f32_e32 v5, v5                                       // 00000000838C: 7E0A4505
	v_rcp_f32_e32 v6, v6                                       // 000000008390: 7E0C4506
	v_rcp_f32_e32 v7, v7                                       // 000000008394: 7E0E4507
	v_mul_f32_e32 v72, v72, v4                                 // 000000008398: 0A900948
	v_mul_f32_e32 v73, v73, v5                                 // 00000000839C: 0A920B49
	v_mul_f32_e32 v74, v74, v6                                 // 0000000083A0: 0A940D4A
	v_mul_f32_e32 v75, v75, v7                                 // 0000000083A4: 0A960F4B
	v_mul_f32_e32 v72, v72, v104                               // 0000000083A8: 0A90D148
	v_mul_f32_e32 v73, v73, v105                               // 0000000083AC: 0A92D349
	v_mul_f32_e32 v74, v74, v106                               // 0000000083B0: 0A94D54A
	v_mul_f32_e32 v75, v75, v107                               // 0000000083B4: 0A96D74B
	v_mul_f32_e64 v4, -v76, s6                                 // 0000000083B8: D1050004 20000D4C
	v_mul_f32_e64 v5, -v77, s6                                 // 0000000083C0: D1050005 20000D4D
	v_mul_f32_e64 v6, -v78, s6                                 // 0000000083C8: D1050006 20000D4E
	v_mul_f32_e64 v7, -v79, s6                                 // 0000000083D0: D1050007 20000D4F
	v_exp_f32_e32 v4, v4                                       // 0000000083D8: 7E084104
	v_exp_f32_e32 v5, v5                                       // 0000000083DC: 7E0A4105
	v_exp_f32_e32 v6, v6                                       // 0000000083E0: 7E0C4106
	v_exp_f32_e32 v7, v7                                       // 0000000083E4: 7E0E4107
	v_add_f32_e64 v4, v4, 1.0                                  // 0000000083E8: D1010004 0001E504
	v_add_f32_e64 v5, v5, 1.0                                  // 0000000083F0: D1010005 0001E505
	v_add_f32_e64 v6, v6, 1.0                                  // 0000000083F8: D1010006 0001E506
	v_add_f32_e64 v7, v7, 1.0                                  // 000000008400: D1010007 0001E507
	v_rcp_f32_e32 v4, v4                                       // 000000008408: 7E084504
	v_rcp_f32_e32 v5, v5                                       // 00000000840C: 7E0A4505
	v_rcp_f32_e32 v6, v6                                       // 000000008410: 7E0C4506
	v_rcp_f32_e32 v7, v7                                       // 000000008414: 7E0E4507
	v_mul_f32_e32 v76, v76, v4                                 // 000000008418: 0A98094C
	v_mul_f32_e32 v77, v77, v5                                 // 00000000841C: 0A9A0B4D
	v_mul_f32_e32 v78, v78, v6                                 // 000000008420: 0A9C0D4E
	v_mul_f32_e32 v79, v79, v7                                 // 000000008424: 0A9E0F4F
	v_mul_f32_e32 v76, v76, v108                               // 000000008428: 0A98D94C
	v_mul_f32_e32 v77, v77, v109                               // 00000000842C: 0A9ADB4D
	v_mul_f32_e32 v78, v78, v110                               // 000000008430: 0A9CDD4E
	v_mul_f32_e32 v79, v79, v111                               // 000000008434: 0A9EDF4F

0000000000008438 <label_1691>:
	v_cmp_u_f32_e64 s[46:47], v48, v48                         // 000000008438: D048002E 00026130
	v_add3_u32 v16, v48, v19, 1                                // 000000008440: D1FF0010 02062730
	v_cndmask_b32_e64 v4, v16, v18, s[46:47]                   // 000000008448: D1000004 00BA2510
	v_cmp_u_f32_e64 s[46:47], v49, v49                         // 000000008450: D048002E 00026331
	v_add3_u32 v16, v49, v19, 1                                // 000000008458: D1FF0010 02062731
	v_cndmask_b32_e64 v5, v16, v18, s[46:47]                   // 000000008460: D1000005 00BA2510
	v_perm_b32 v48, v5, v4, s52                                // 000000008468: D1ED0030 00D20905
	v_cmp_u_f32_e64 s[46:47], v50, v50                         // 000000008470: D048002E 00026532
	v_add3_u32 v16, v50, v19, 1                                // 000000008478: D1FF0010 02062732
	v_cndmask_b32_e64 v4, v16, v18, s[46:47]                   // 000000008480: D1000004 00BA2510
	v_cmp_u_f32_e64 s[46:47], v51, v51                         // 000000008488: D048002E 00026733
	v_add3_u32 v16, v51, v19, 1                                // 000000008490: D1FF0010 02062733
	v_cndmask_b32_e64 v5, v16, v18, s[46:47]                   // 000000008498: D1000005 00BA2510
	v_perm_b32 v49, v5, v4, s52                                // 0000000084A0: D1ED0031 00D20905
	v_cmp_u_f32_e64 s[46:47], v52, v52                         // 0000000084A8: D048002E 00026934
	v_add3_u32 v16, v52, v19, 1                                // 0000000084B0: D1FF0010 02062734
	v_cndmask_b32_e64 v4, v16, v18, s[46:47]                   // 0000000084B8: D1000004 00BA2510
	v_cmp_u_f32_e64 s[46:47], v53, v53                         // 0000000084C0: D048002E 00026B35
	v_add3_u32 v16, v53, v19, 1                                // 0000000084C8: D1FF0010 02062735
	v_cndmask_b32_e64 v5, v16, v18, s[46:47]                   // 0000000084D0: D1000005 00BA2510
	v_perm_b32 v50, v5, v4, s52                                // 0000000084D8: D1ED0032 00D20905
	v_cmp_u_f32_e64 s[46:47], v54, v54                         // 0000000084E0: D048002E 00026D36
	v_add3_u32 v16, v54, v19, 1                                // 0000000084E8: D1FF0010 02062736
	v_cndmask_b32_e64 v4, v16, v18, s[46:47]                   // 0000000084F0: D1000004 00BA2510
	v_cmp_u_f32_e64 s[46:47], v55, v55                         // 0000000084F8: D048002E 00026F37
	v_add3_u32 v16, v55, v19, 1                                // 000000008500: D1FF0010 02062737
	v_cndmask_b32_e64 v5, v16, v18, s[46:47]                   // 000000008508: D1000005 00BA2510
	v_perm_b32 v51, v5, v4, s52                                // 000000008510: D1ED0033 00D20905
	v_cmp_u_f32_e64 s[46:47], v56, v56                         // 000000008518: D048002E 00027138
	v_add3_u32 v16, v56, v19, 1                                // 000000008520: D1FF0010 02062738
	v_cndmask_b32_e64 v4, v16, v18, s[46:47]                   // 000000008528: D1000004 00BA2510
	v_cmp_u_f32_e64 s[46:47], v57, v57                         // 000000008530: D048002E 00027339
	v_add3_u32 v16, v57, v19, 1                                // 000000008538: D1FF0010 02062739
	v_cndmask_b32_e64 v5, v16, v18, s[46:47]                   // 000000008540: D1000005 00BA2510
	v_perm_b32 v52, v5, v4, s52                                // 000000008548: D1ED0034 00D20905
	v_cmp_u_f32_e64 s[46:47], v58, v58                         // 000000008550: D048002E 0002753A
	v_add3_u32 v16, v58, v19, 1                                // 000000008558: D1FF0010 0206273A
	v_cndmask_b32_e64 v4, v16, v18, s[46:47]                   // 000000008560: D1000004 00BA2510
	v_cmp_u_f32_e64 s[46:47], v59, v59                         // 000000008568: D048002E 0002773B
	v_add3_u32 v16, v59, v19, 1                                // 000000008570: D1FF0010 0206273B
	v_cndmask_b32_e64 v5, v16, v18, s[46:47]                   // 000000008578: D1000005 00BA2510
	v_perm_b32 v53, v5, v4, s52                                // 000000008580: D1ED0035 00D20905
	v_cmp_u_f32_e64 s[46:47], v60, v60                         // 000000008588: D048002E 0002793C
	v_add3_u32 v16, v60, v19, 1                                // 000000008590: D1FF0010 0206273C
	v_cndmask_b32_e64 v4, v16, v18, s[46:47]                   // 000000008598: D1000004 00BA2510
	v_cmp_u_f32_e64 s[46:47], v61, v61                         // 0000000085A0: D048002E 00027B3D
	v_add3_u32 v16, v61, v19, 1                                // 0000000085A8: D1FF0010 0206273D
	v_cndmask_b32_e64 v5, v16, v18, s[46:47]                   // 0000000085B0: D1000005 00BA2510
	v_perm_b32 v54, v5, v4, s52                                // 0000000085B8: D1ED0036 00D20905
	v_cmp_u_f32_e64 s[46:47], v62, v62                         // 0000000085C0: D048002E 00027D3E
	v_add3_u32 v16, v62, v19, 1                                // 0000000085C8: D1FF0010 0206273E
	v_cndmask_b32_e64 v4, v16, v18, s[46:47]                   // 0000000085D0: D1000004 00BA2510
	v_cmp_u_f32_e64 s[46:47], v63, v63                         // 0000000085D8: D048002E 00027F3F
	v_add3_u32 v16, v63, v19, 1                                // 0000000085E0: D1FF0010 0206273F
	v_cndmask_b32_e64 v5, v16, v18, s[46:47]                   // 0000000085E8: D1000005 00BA2510
	v_perm_b32 v55, v5, v4, s52                                // 0000000085F0: D1ED0037 00D20905
	v_cmp_u_f32_e64 s[46:47], v64, v64                         // 0000000085F8: D048002E 00028140
	v_add3_u32 v16, v64, v19, 1                                // 000000008600: D1FF0010 02062740
	v_cndmask_b32_e64 v4, v16, v18, s[46:47]                   // 000000008608: D1000004 00BA2510
	v_cmp_u_f32_e64 s[46:47], v65, v65                         // 000000008610: D048002E 00028341
	v_add3_u32 v16, v65, v19, 1                                // 000000008618: D1FF0010 02062741
	v_cndmask_b32_e64 v5, v16, v18, s[46:47]                   // 000000008620: D1000005 00BA2510
	v_perm_b32 v56, v5, v4, s52                                // 000000008628: D1ED0038 00D20905
	v_cmp_u_f32_e64 s[46:47], v66, v66                         // 000000008630: D048002E 00028542
	v_add3_u32 v16, v66, v19, 1                                // 000000008638: D1FF0010 02062742
	v_cndmask_b32_e64 v4, v16, v18, s[46:47]                   // 000000008640: D1000004 00BA2510
	v_cmp_u_f32_e64 s[46:47], v67, v67                         // 000000008648: D048002E 00028743
	v_add3_u32 v16, v67, v19, 1                                // 000000008650: D1FF0010 02062743
	v_cndmask_b32_e64 v5, v16, v18, s[46:47]                   // 000000008658: D1000005 00BA2510
	v_perm_b32 v57, v5, v4, s52                                // 000000008660: D1ED0039 00D20905
	v_cmp_u_f32_e64 s[46:47], v68, v68                         // 000000008668: D048002E 00028944
	v_add3_u32 v16, v68, v19, 1                                // 000000008670: D1FF0010 02062744
	v_cndmask_b32_e64 v4, v16, v18, s[46:47]                   // 000000008678: D1000004 00BA2510
	v_cmp_u_f32_e64 s[46:47], v69, v69                         // 000000008680: D048002E 00028B45
	v_add3_u32 v16, v69, v19, 1                                // 000000008688: D1FF0010 02062745
	v_cndmask_b32_e64 v5, v16, v18, s[46:47]                   // 000000008690: D1000005 00BA2510
	v_perm_b32 v58, v5, v4, s52                                // 000000008698: D1ED003A 00D20905
	v_cmp_u_f32_e64 s[46:47], v70, v70                         // 0000000086A0: D048002E 00028D46
	v_add3_u32 v16, v70, v19, 1                                // 0000000086A8: D1FF0010 02062746
	v_cndmask_b32_e64 v4, v16, v18, s[46:47]                   // 0000000086B0: D1000004 00BA2510
	v_cmp_u_f32_e64 s[46:47], v71, v71                         // 0000000086B8: D048002E 00028F47
	v_add3_u32 v16, v71, v19, 1                                // 0000000086C0: D1FF0010 02062747
	v_cndmask_b32_e64 v5, v16, v18, s[46:47]                   // 0000000086C8: D1000005 00BA2510
	v_perm_b32 v59, v5, v4, s52                                // 0000000086D0: D1ED003B 00D20905
	v_cmp_u_f32_e64 s[46:47], v72, v72                         // 0000000086D8: D048002E 00029148
	v_add3_u32 v16, v72, v19, 1                                // 0000000086E0: D1FF0010 02062748
	v_cndmask_b32_e64 v4, v16, v18, s[46:47]                   // 0000000086E8: D1000004 00BA2510
	v_cmp_u_f32_e64 s[46:47], v73, v73                         // 0000000086F0: D048002E 00029349
	v_add3_u32 v16, v73, v19, 1                                // 0000000086F8: D1FF0010 02062749
	v_cndmask_b32_e64 v5, v16, v18, s[46:47]                   // 000000008700: D1000005 00BA2510
	v_perm_b32 v60, v5, v4, s52                                // 000000008708: D1ED003C 00D20905
	v_cmp_u_f32_e64 s[46:47], v74, v74                         // 000000008710: D048002E 0002954A
	v_add3_u32 v16, v74, v19, 1                                // 000000008718: D1FF0010 0206274A
	v_cndmask_b32_e64 v4, v16, v18, s[46:47]                   // 000000008720: D1000004 00BA2510
	v_cmp_u_f32_e64 s[46:47], v75, v75                         // 000000008728: D048002E 0002974B
	v_add3_u32 v16, v75, v19, 1                                // 000000008730: D1FF0010 0206274B
	v_cndmask_b32_e64 v5, v16, v18, s[46:47]                   // 000000008738: D1000005 00BA2510
	v_perm_b32 v61, v5, v4, s52                                // 000000008740: D1ED003D 00D20905
	v_cmp_u_f32_e64 s[46:47], v76, v76                         // 000000008748: D048002E 0002994C
	v_add3_u32 v16, v76, v19, 1                                // 000000008750: D1FF0010 0206274C
	v_cndmask_b32_e64 v4, v16, v18, s[46:47]                   // 000000008758: D1000004 00BA2510
	v_cmp_u_f32_e64 s[46:47], v77, v77                         // 000000008760: D048002E 00029B4D
	v_add3_u32 v16, v77, v19, 1                                // 000000008768: D1FF0010 0206274D
	v_cndmask_b32_e64 v5, v16, v18, s[46:47]                   // 000000008770: D1000005 00BA2510
	v_perm_b32 v62, v5, v4, s52                                // 000000008778: D1ED003E 00D20905
	v_cmp_u_f32_e64 s[46:47], v78, v78                         // 000000008780: D048002E 00029D4E
	v_add3_u32 v16, v78, v19, 1                                // 000000008788: D1FF0010 0206274E
	v_cndmask_b32_e64 v4, v16, v18, s[46:47]                   // 000000008790: D1000004 00BA2510
	v_cmp_u_f32_e64 s[46:47], v79, v79                         // 000000008798: D048002E 00029F4F
	v_add3_u32 v16, v79, v19, 1                                // 0000000087A0: D1FF0010 0206274F
	v_cndmask_b32_e64 v5, v16, v18, s[46:47]                   // 0000000087A8: D1000005 00BA2510
	v_perm_b32 v63, v5, v4, s52                                // 0000000087B0: D1ED003F 00D20905
	ds_write_b64 v20, v[48:49]                                 // 0000000087B8: D89A0000 00003014
	ds_write_b64 v20, v[50:51] offset:8704                     // 0000000087C0: D89A2200 00003214
	ds_write_b64 v20, v[52:53] offset:2176                     // 0000000087C8: D89A0880 00003414
	ds_write_b64 v20, v[54:55] offset:10880                    // 0000000087D0: D89A2A80 00003614
	ds_write_b64 v20, v[56:57] offset:4352                     // 0000000087D8: D89A1100 00003814
	ds_write_b64 v20, v[58:59] offset:13056                    // 0000000087E0: D89A3300 00003A14
	ds_write_b64 v20, v[60:61] offset:6528                     // 0000000087E8: D89A1980 00003C14
	ds_write_b64 v20, v[62:63] offset:15232                    // 0000000087F0: D89A3B80 00003E14
	v_lshrrev_b32_e32 v4, 5, v0                                // 0000000087F8: 20080085
	v_xor_b32_e32 v5, 1, v4                                    // 0000000087FC: 2A0A0881
	s_mul_i32 s60, s65, 2                                      // 000000008800: 923C8241
	s_cmp_eq_u32 s88, 0                                        // 000000008804: BF068058
	s_cselect_b32 s61, 1, 4                                    // 000000008808: 853D8481
	s_mul_i32 s60, s61, s60                                    // 00000000880C: 923C3C3D
	v_readlane_b32 s82, v3, 0                                  // 000000008810: D2890052 00010103
	s_lshr_b32 s61, s82, 24                                    // 000000008818: 8F3D9852
	s_and_b32 s82, s82, 0xffffff                               // 00000000881C: 8652FF52 00FFFFFF
	s_mul_i32 s82, s82, s71                                    // 000000008824: 92524752
	s_mul_i32 s61, s60, s61                                    // 000000008828: 923D3D3C
	s_add_u32 s82, s82, s61                                    // 00000000882C: 80523D52
	v_mul_lo_u32 v6, v5, s82                                   // 000000008830: D2850006 0000A505
	v_readlane_b32 s82, v3, 1                                  // 000000008838: D2890052 00010303
	s_lshr_b32 s61, s82, 24                                    // 000000008840: 8F3D9852
	s_and_b32 s82, s82, 0xffffff                               // 000000008844: 8652FF52 00FFFFFF
	s_mul_i32 s82, s82, s71                                    // 00000000884C: 92524752
	s_mul_i32 s61, s60, s61                                    // 000000008850: 923D3D3C
	s_add_u32 s82, s82, s61                                    // 000000008854: 80523D52
	v_mul_lo_u32 v7, v4, s82                                   // 000000008858: D2850007 0000A504
	v_add_u32_e32 v38, v6, v7                                  // 000000008860: 684C0F06
	v_readlane_b32 s82, v3, 2                                  // 000000008864: D2890052 00010503
	s_lshr_b32 s61, s82, 24                                    // 00000000886C: 8F3D9852
	s_and_b32 s82, s82, 0xffffff                               // 000000008870: 8652FF52 00FFFFFF
	s_mul_i32 s82, s82, s71                                    // 000000008878: 92524752
	s_mul_i32 s61, s60, s61                                    // 00000000887C: 923D3D3C
	s_add_u32 s82, s82, s61                                    // 000000008880: 80523D52
	v_mul_lo_u32 v6, v5, s82                                   // 000000008884: D2850006 0000A505
	v_readlane_b32 s82, v3, 3                                  // 00000000888C: D2890052 00010703
	s_lshr_b32 s61, s82, 24                                    // 000000008894: 8F3D9852
	s_and_b32 s82, s82, 0xffffff                               // 000000008898: 8652FF52 00FFFFFF
	s_mul_i32 s82, s82, s71                                    // 0000000088A0: 92524752
	s_mul_i32 s61, s60, s61                                    // 0000000088A4: 923D3D3C
	s_add_u32 s82, s82, s61                                    // 0000000088A8: 80523D52
	v_mul_lo_u32 v7, v4, s82                                   // 0000000088AC: D2850007 0000A504
	v_add_u32_e32 v39, v6, v7                                  // 0000000088B4: 684E0F06
	v_readlane_b32 s82, v3, 4                                  // 0000000088B8: D2890052 00010903
	s_lshr_b32 s61, s82, 24                                    // 0000000088C0: 8F3D9852
	s_and_b32 s82, s82, 0xffffff                               // 0000000088C4: 8652FF52 00FFFFFF
	s_mul_i32 s82, s82, s71                                    // 0000000088CC: 92524752
	s_mul_i32 s61, s60, s61                                    // 0000000088D0: 923D3D3C
	s_add_u32 s82, s82, s61                                    // 0000000088D4: 80523D52
	v_mul_lo_u32 v6, v5, s82                                   // 0000000088D8: D2850006 0000A505
	v_readlane_b32 s82, v3, 5                                  // 0000000088E0: D2890052 00010B03
	s_lshr_b32 s61, s82, 24                                    // 0000000088E8: 8F3D9852
	s_and_b32 s82, s82, 0xffffff                               // 0000000088EC: 8652FF52 00FFFFFF
	s_mul_i32 s82, s82, s71                                    // 0000000088F4: 92524752
	s_mul_i32 s61, s60, s61                                    // 0000000088F8: 923D3D3C
	s_add_u32 s82, s82, s61                                    // 0000000088FC: 80523D52
	v_mul_lo_u32 v7, v4, s82                                   // 000000008900: D2850007 0000A504
	v_add_u32_e32 v40, v6, v7                                  // 000000008908: 68500F06
	v_readlane_b32 s82, v3, 6                                  // 00000000890C: D2890052 00010D03
	s_lshr_b32 s61, s82, 24                                    // 000000008914: 8F3D9852
	s_and_b32 s82, s82, 0xffffff                               // 000000008918: 8652FF52 00FFFFFF
	s_mul_i32 s82, s82, s71                                    // 000000008920: 92524752
	s_mul_i32 s61, s60, s61                                    // 000000008924: 923D3D3C
	s_add_u32 s82, s82, s61                                    // 000000008928: 80523D52
	v_mul_lo_u32 v6, v5, s82                                   // 00000000892C: D2850006 0000A505
	v_readlane_b32 s82, v3, 7                                  // 000000008934: D2890052 00010F03
	s_lshr_b32 s61, s82, 24                                    // 00000000893C: 8F3D9852
	s_and_b32 s82, s82, 0xffffff                               // 000000008940: 8652FF52 00FFFFFF
	s_mul_i32 s82, s82, s71                                    // 000000008948: 92524752
	s_mul_i32 s61, s60, s61                                    // 00000000894C: 923D3D3C
	s_add_u32 s82, s82, s61                                    // 000000008950: 80523D52
	v_mul_lo_u32 v7, v4, s82                                   // 000000008954: D2850007 0000A504
	v_add_u32_e32 v41, v6, v7                                  // 00000000895C: 68520F06
	v_and_b32_e32 v4, 31, v0                                   // 000000008960: 2608009F
	v_lshrrev_b32_e32 v4, 1, v4                                // 000000008964: 20080881
	s_cmp_eq_u32 s88, 0                                        // 000000008968: BF068058
	s_cselect_b32 s61, 2, 4                                    // 00000000896C: 853D8482
	v_mul_lo_u32 v4, v4, s61                                   // 000000008970: D2850004 00007B04
	v_and_b32_e64 v5, v0, 1                                    // 000000008978: D1130005 00010300
	v_add_u32_e32 v4, v4, v5                                   // 000000008980: 68080B04
	v_lshlrev_b32_e32 v4, 2, v4                                // 000000008984: 24080882
	v_add_u32_e32 v38, v38, v4                                 // 000000008988: 684C0926
	v_add_u32_e32 v39, v39, v4                                 // 00000000898C: 684E0927
	v_add_u32_e32 v40, v40, v4                                 // 000000008990: 68500928
	v_add_u32_e32 v41, v41, v4                                 // 000000008994: 68520929
	s_waitcnt lgkmcnt(0)                                       // 000000008998: BF8CC07F
	s_barrier                                                  // 00000000899C: BF8A0000
	ds_read_b32 v48, v21                                       // 0000000089A0: D86C0000 30000015
	ds_read_b32 v49, v21 offset:64                             // 0000000089A8: D86C0040 31000015
	ds_read_b32 v50, v21 offset:2176                           // 0000000089B0: D86C0880 32000015
	ds_read_b32 v51, v21 offset:2240                           // 0000000089B8: D86C08C0 33000015
	ds_read_b32 v52, v21 offset:4352                           // 0000000089C0: D86C1100 34000015
	ds_read_b32 v53, v21 offset:4416                           // 0000000089C8: D86C1140 35000015
	ds_read_b32 v54, v21 offset:6528                           // 0000000089D0: D86C1980 36000015
	ds_read_b32 v55, v21 offset:6592                           // 0000000089D8: D86C19C0 37000015
	ds_read_b32 v56, v21 offset:8704                           // 0000000089E0: D86C2200 38000015
	ds_read_b32 v57, v21 offset:8768                           // 0000000089E8: D86C2240 39000015
	ds_read_b32 v58, v21 offset:10880                          // 0000000089F0: D86C2A80 3A000015
	ds_read_b32 v59, v21 offset:10944                          // 0000000089F8: D86C2AC0 3B000015
	ds_read_b32 v60, v21 offset:13056                          // 000000008A00: D86C3300 3C000015
	ds_read_b32 v61, v21 offset:13120                          // 000000008A08: D86C3340 3D000015
	ds_read_b32 v62, v21 offset:15232                          // 000000008A10: D86C3B80 3E000015
	ds_read_b32 v63, v21 offset:15296                          // 000000008A18: D86C3BC0 3F000015
	s_waitcnt lgkmcnt(0)                                       // 000000008A20: BF8CC07F
	s_mov_b32 s36, -1                                          // 000000008A24: BEA400C1
	s_mov_b32 s37, -1                                          // 000000008A28: BEA500C1
	v_mov_b32_e32 v7, 0                                        // 000000008A2C: 7E0E0280
	s_or_b32 s9, s9, 0x40000                                   // 000000008A30: 8709FF09 00040000
	s_mov_b64 exec, s[36:37]                                   // 000000008A38: BEFE0124
	v_mov_b32_e32 v6, v38                                      // 000000008A3C: 7E0C0326
	s_mov_b64 s[60:61], 0                                      // 000000008A40: BEBC0180
	v_readlane_b32 s82, v3, 0                                  // 000000008A44: D2890052 00010103
	s_and_b32 s82, s82, 0xffffff                               // 000000008A4C: 8652FF52 00FFFFFF
	s_cmp_lt_u32 s82, s66                                      // 000000008A54: BF0A4252
	s_cselect_b32 s20, s36, s60                                // 000000008A58: 85143C24
	v_readlane_b32 s82, v3, 1                                  // 000000008A5C: D2890052 00010303
	s_and_b32 s82, s82, 0xffffff                               // 000000008A64: 8652FF52 00FFFFFF
	s_cmp_lt_u32 s82, s66                                      // 000000008A6C: BF0A4252
	s_cselect_b32 s21, s36, s60                                // 000000008A70: 85153C24
	s_mov_b64 exec, s[20:21]                                   // 000000008A74: BEFE0114
	buffer_store_dword v48, v6, s[8:11], 0 offen               // 000000008A78: E0701000 80023006
	buffer_store_dword v50, v6, s[8:11], 0 offen offset:128    // 000000008A80: E0701080 80023206
	buffer_store_dword v52, v6, s[8:11], 0 offen offset:256    // 000000008A88: E0701100 80023406
	buffer_store_dword v54, v6, s[8:11], 0 offen offset:384    // 000000008A90: E0701180 80023606
	s_mov_b64 exec, s[36:37]                                   // 000000008A98: BEFE0124
	v_mov_b32_e32 v6, v39                                      // 000000008A9C: 7E0C0327
	s_mov_b64 s[60:61], 0                                      // 000000008AA0: BEBC0180
	v_readlane_b32 s82, v3, 2                                  // 000000008AA4: D2890052 00010503
	s_and_b32 s82, s82, 0xffffff                               // 000000008AAC: 8652FF52 00FFFFFF
	s_cmp_lt_u32 s82, s66                                      // 000000008AB4: BF0A4252
	s_cselect_b32 s20, s36, s60                                // 000000008AB8: 85143C24
	v_readlane_b32 s82, v3, 3                                  // 000000008ABC: D2890052 00010703
	s_and_b32 s82, s82, 0xffffff                               // 000000008AC4: 8652FF52 00FFFFFF
	s_cmp_lt_u32 s82, s66                                      // 000000008ACC: BF0A4252
	s_cselect_b32 s21, s36, s60                                // 000000008AD0: 85153C24
	s_mov_b64 exec, s[20:21]                                   // 000000008AD4: BEFE0114
	buffer_store_dword v49, v6, s[8:11], 0 offen               // 000000008AD8: E0701000 80023106
	buffer_store_dword v51, v6, s[8:11], 0 offen offset:128    // 000000008AE0: E0701080 80023306
	buffer_store_dword v53, v6, s[8:11], 0 offen offset:256    // 000000008AE8: E0701100 80023506
	buffer_store_dword v55, v6, s[8:11], 0 offen offset:384    // 000000008AF0: E0701180 80023706
	s_mov_b64 exec, s[36:37]                                   // 000000008AF8: BEFE0124
	v_mov_b32_e32 v6, v40                                      // 000000008AFC: 7E0C0328
	s_mov_b64 s[60:61], 0                                      // 000000008B00: BEBC0180
	v_readlane_b32 s82, v3, 4                                  // 000000008B04: D2890052 00010903
	s_and_b32 s82, s82, 0xffffff                               // 000000008B0C: 8652FF52 00FFFFFF
	s_cmp_lt_u32 s82, s66                                      // 000000008B14: BF0A4252
	s_cselect_b32 s20, s36, s60                                // 000000008B18: 85143C24
	v_readlane_b32 s82, v3, 5                                  // 000000008B1C: D2890052 00010B03
	s_and_b32 s82, s82, 0xffffff                               // 000000008B24: 8652FF52 00FFFFFF
	s_cmp_lt_u32 s82, s66                                      // 000000008B2C: BF0A4252
	s_cselect_b32 s21, s36, s60                                // 000000008B30: 85153C24
	s_mov_b64 exec, s[20:21]                                   // 000000008B34: BEFE0114
	buffer_store_dword v56, v6, s[8:11], 0 offen               // 000000008B38: E0701000 80023806
	buffer_store_dword v58, v6, s[8:11], 0 offen offset:128    // 000000008B40: E0701080 80023A06
	buffer_store_dword v60, v6, s[8:11], 0 offen offset:256    // 000000008B48: E0701100 80023C06
	buffer_store_dword v62, v6, s[8:11], 0 offen offset:384    // 000000008B50: E0701180 80023E06
	s_mov_b64 exec, s[36:37]                                   // 000000008B58: BEFE0124
	v_mov_b32_e32 v6, v41                                      // 000000008B5C: 7E0C0329
	s_mov_b64 s[60:61], 0                                      // 000000008B60: BEBC0180
	v_readlane_b32 s82, v3, 6                                  // 000000008B64: D2890052 00010D03
	s_and_b32 s82, s82, 0xffffff                               // 000000008B6C: 8652FF52 00FFFFFF
	s_cmp_lt_u32 s82, s66                                      // 000000008B74: BF0A4252
	s_cselect_b32 s20, s36, s60                                // 000000008B78: 85143C24
	v_readlane_b32 s82, v3, 7                                  // 000000008B7C: D2890052 00010F03
	s_and_b32 s82, s82, 0xffffff                               // 000000008B84: 8652FF52 00FFFFFF
	s_cmp_lt_u32 s82, s66                                      // 000000008B8C: BF0A4252
	s_cselect_b32 s21, s36, s60                                // 000000008B90: 85153C24
	s_mov_b64 exec, s[20:21]                                   // 000000008B94: BEFE0114
	buffer_store_dword v57, v6, s[8:11], 0 offen               // 000000008B98: E0701000 80023906
	buffer_store_dword v59, v6, s[8:11], 0 offen offset:128    // 000000008BA0: E0701080 80023B06
	buffer_store_dword v61, v6, s[8:11], 0 offen offset:256    // 000000008BA8: E0701100 80023D06
	buffer_store_dword v63, v6, s[8:11], 0 offen offset:384    // 000000008BB0: E0701180 80023F06
	s_mov_b64 exec, s[36:37]                                   // 000000008BB8: BEFE0124
	s_branch label_1B35                                        // 000000008BBC: BF8202C2

0000000000008bc0 <label_1873>:
	ds_write_b64 v20, v[48:49]                                 // 000000008BC0: D89A0000 00003014
	ds_write_b64 v20, v[52:53] offset:8704                     // 000000008BC8: D89A2200 00003414
	ds_write_b64 v20, v[56:57] offset:2176                     // 000000008BD0: D89A0880 00003814
	ds_write_b64 v20, v[60:61] offset:10880                    // 000000008BD8: D89A2A80 00003C14
	ds_write_b64 v20, v[64:65] offset:4352                     // 000000008BE0: D89A1100 00004014
	ds_write_b64 v20, v[68:69] offset:13056                    // 000000008BE8: D89A3300 00004414
	ds_write_b64 v20, v[72:73] offset:6528                     // 000000008BF0: D89A1980 00004814
	ds_write_b64 v20, v[76:77] offset:15232                    // 000000008BF8: D89A3B80 00004C14
	v_lshrrev_b32_e32 v4, 5, v0                                // 000000008C00: 20080085
	v_xor_b32_e32 v5, 1, v4                                    // 000000008C04: 2A0A0881
	s_mul_i32 s60, s65, 2                                      // 000000008C08: 923C8241
	s_cmp_eq_u32 s88, 0                                        // 000000008C0C: BF068058
	s_cselect_b32 s61, 1, 4                                    // 000000008C10: 853D8481
	s_mul_i32 s60, s61, s60                                    // 000000008C14: 923C3C3D
	v_readlane_b32 s82, v3, 0                                  // 000000008C18: D2890052 00010103
	s_lshr_b32 s61, s82, 24                                    // 000000008C20: 8F3D9852
	s_and_b32 s82, s82, 0xffffff                               // 000000008C24: 8652FF52 00FFFFFF
	s_mul_i32 s82, s82, s71                                    // 000000008C2C: 92524752
	s_mul_i32 s61, s60, s61                                    // 000000008C30: 923D3D3C
	s_add_u32 s82, s82, s61                                    // 000000008C34: 80523D52
	v_mul_lo_u32 v6, v5, s82                                   // 000000008C38: D2850006 0000A505
	v_readlane_b32 s82, v3, 1                                  // 000000008C40: D2890052 00010303
	s_lshr_b32 s61, s82, 24                                    // 000000008C48: 8F3D9852
	s_and_b32 s82, s82, 0xffffff                               // 000000008C4C: 8652FF52 00FFFFFF
	s_mul_i32 s82, s82, s71                                    // 000000008C54: 92524752
	s_mul_i32 s61, s60, s61                                    // 000000008C58: 923D3D3C
	s_add_u32 s82, s82, s61                                    // 000000008C5C: 80523D52
	v_mul_lo_u32 v7, v4, s82                                   // 000000008C60: D2850007 0000A504
	v_add_u32_e32 v38, v6, v7                                  // 000000008C68: 684C0F06
	v_readlane_b32 s82, v3, 2                                  // 000000008C6C: D2890052 00010503
	s_lshr_b32 s61, s82, 24                                    // 000000008C74: 8F3D9852
	s_and_b32 s82, s82, 0xffffff                               // 000000008C78: 8652FF52 00FFFFFF
	s_mul_i32 s82, s82, s71                                    // 000000008C80: 92524752
	s_mul_i32 s61, s60, s61                                    // 000000008C84: 923D3D3C
	s_add_u32 s82, s82, s61                                    // 000000008C88: 80523D52
	v_mul_lo_u32 v6, v5, s82                                   // 000000008C8C: D2850006 0000A505
	v_readlane_b32 s82, v3, 3                                  // 000000008C94: D2890052 00010703
	s_lshr_b32 s61, s82, 24                                    // 000000008C9C: 8F3D9852
	s_and_b32 s82, s82, 0xffffff                               // 000000008CA0: 8652FF52 00FFFFFF
	s_mul_i32 s82, s82, s71                                    // 000000008CA8: 92524752
	s_mul_i32 s61, s60, s61                                    // 000000008CAC: 923D3D3C
	s_add_u32 s82, s82, s61                                    // 000000008CB0: 80523D52
	v_mul_lo_u32 v7, v4, s82                                   // 000000008CB4: D2850007 0000A504
	v_add_u32_e32 v39, v6, v7                                  // 000000008CBC: 684E0F06
	v_readlane_b32 s82, v3, 4                                  // 000000008CC0: D2890052 00010903
	s_lshr_b32 s61, s82, 24                                    // 000000008CC8: 8F3D9852
	s_and_b32 s82, s82, 0xffffff                               // 000000008CCC: 8652FF52 00FFFFFF
	s_mul_i32 s82, s82, s71                                    // 000000008CD4: 92524752
	s_mul_i32 s61, s60, s61                                    // 000000008CD8: 923D3D3C
	s_add_u32 s82, s82, s61                                    // 000000008CDC: 80523D52
	v_mul_lo_u32 v6, v5, s82                                   // 000000008CE0: D2850006 0000A505
	v_readlane_b32 s82, v3, 5                                  // 000000008CE8: D2890052 00010B03
	s_lshr_b32 s61, s82, 24                                    // 000000008CF0: 8F3D9852
	s_and_b32 s82, s82, 0xffffff                               // 000000008CF4: 8652FF52 00FFFFFF
	s_mul_i32 s82, s82, s71                                    // 000000008CFC: 92524752
	s_mul_i32 s61, s60, s61                                    // 000000008D00: 923D3D3C
	s_add_u32 s82, s82, s61                                    // 000000008D04: 80523D52
	v_mul_lo_u32 v7, v4, s82                                   // 000000008D08: D2850007 0000A504
	v_add_u32_e32 v40, v6, v7                                  // 000000008D10: 68500F06
	v_readlane_b32 s82, v3, 6                                  // 000000008D14: D2890052 00010D03
	s_lshr_b32 s61, s82, 24                                    // 000000008D1C: 8F3D9852
	s_and_b32 s82, s82, 0xffffff                               // 000000008D20: 8652FF52 00FFFFFF
	s_mul_i32 s82, s82, s71                                    // 000000008D28: 92524752
	s_mul_i32 s61, s60, s61                                    // 000000008D2C: 923D3D3C
	s_add_u32 s82, s82, s61                                    // 000000008D30: 80523D52
	v_mul_lo_u32 v6, v5, s82                                   // 000000008D34: D2850006 0000A505
	v_readlane_b32 s82, v3, 7                                  // 000000008D3C: D2890052 00010F03
	s_lshr_b32 s61, s82, 24                                    // 000000008D44: 8F3D9852
	s_and_b32 s82, s82, 0xffffff                               // 000000008D48: 8652FF52 00FFFFFF
	s_mul_i32 s82, s82, s71                                    // 000000008D50: 92524752
	s_mul_i32 s61, s60, s61                                    // 000000008D54: 923D3D3C
	s_add_u32 s82, s82, s61                                    // 000000008D58: 80523D52
	v_mul_lo_u32 v7, v4, s82                                   // 000000008D5C: D2850007 0000A504
	v_add_u32_e32 v41, v6, v7                                  // 000000008D64: 68520F06
	v_and_b32_e32 v4, 31, v0                                   // 000000008D68: 2608009F
	v_lshrrev_b32_e32 v4, 1, v4                                // 000000008D6C: 20080881
	s_cmp_eq_u32 s88, 0                                        // 000000008D70: BF068058
	s_cselect_b32 s61, 2, 4                                    // 000000008D74: 853D8482
	v_mul_lo_u32 v4, v4, s61                                   // 000000008D78: D2850004 00007B04
	v_and_b32_e64 v5, v0, 1                                    // 000000008D80: D1130005 00010300
	v_add_u32_e32 v4, v4, v5                                   // 000000008D88: 68080B04
	v_lshlrev_b32_e32 v4, 2, v4                                // 000000008D8C: 24080882
	v_add_u32_e32 v38, v38, v4                                 // 000000008D90: 684C0926
	v_add_u32_e32 v39, v39, v4                                 // 000000008D94: 684E0927
	v_add_u32_e32 v40, v40, v4                                 // 000000008D98: 68500928
	v_add_u32_e32 v41, v41, v4                                 // 000000008D9C: 68520929
	s_waitcnt lgkmcnt(0)                                       // 000000008DA0: BF8CC07F
	s_barrier                                                  // 000000008DA4: BF8A0000
	ds_read_b32 v48, v21                                       // 000000008DA8: D86C0000 30000015
	ds_read_b32 v49, v21 offset:64                             // 000000008DB0: D86C0040 31000015
	ds_read_b32 v52, v21 offset:2176                           // 000000008DB8: D86C0880 34000015
	ds_read_b32 v53, v21 offset:2240                           // 000000008DC0: D86C08C0 35000015
	ds_read_b32 v56, v21 offset:4352                           // 000000008DC8: D86C1100 38000015
	ds_read_b32 v57, v21 offset:4416                           // 000000008DD0: D86C1140 39000015
	ds_read_b32 v60, v21 offset:6528                           // 000000008DD8: D86C1980 3C000015
	ds_read_b32 v61, v21 offset:6592                           // 000000008DE0: D86C19C0 3D000015
	ds_read_b32 v64, v21 offset:8704                           // 000000008DE8: D86C2200 40000015
	ds_read_b32 v65, v21 offset:8768                           // 000000008DF0: D86C2240 41000015
	ds_read_b32 v68, v21 offset:10880                          // 000000008DF8: D86C2A80 44000015
	ds_read_b32 v69, v21 offset:10944                          // 000000008E00: D86C2AC0 45000015
	ds_read_b32 v72, v21 offset:13056                          // 000000008E08: D86C3300 48000015
	ds_read_b32 v73, v21 offset:13120                          // 000000008E10: D86C3340 49000015
	ds_read_b32 v76, v21 offset:15232                          // 000000008E18: D86C3B80 4C000015
	ds_read_b32 v77, v21 offset:15296                          // 000000008E20: D86C3BC0 4D000015
	s_waitcnt lgkmcnt(0)                                       // 000000008E28: BF8CC07F
	s_mov_b32 s36, -1                                          // 000000008E2C: BEA400C1
	s_mov_b32 s37, -1                                          // 000000008E30: BEA500C1
	v_mov_b32_e32 v7, 0                                        // 000000008E34: 7E0E0280
	s_mov_b64 exec, s[36:37]                                   // 000000008E38: BEFE0124
	v_mov_b32_e32 v6, v38                                      // 000000008E3C: 7E0C0326
	s_mov_b64 s[60:61], 0                                      // 000000008E40: BEBC0180
	v_readlane_b32 s82, v3, 0                                  // 000000008E44: D2890052 00010103
	s_and_b32 s82, s82, 0xffffff                               // 000000008E4C: 8652FF52 00FFFFFF
	s_cmp_lt_u32 s82, s66                                      // 000000008E54: BF0A4252
	s_cselect_b32 s20, s36, s60                                // 000000008E58: 85143C24
	v_readlane_b32 s82, v3, 1                                  // 000000008E5C: D2890052 00010303
	s_and_b32 s82, s82, 0xffffff                               // 000000008E64: 8652FF52 00FFFFFF
	s_cmp_lt_u32 s82, s66                                      // 000000008E6C: BF0A4252
	s_cselect_b32 s21, s36, s60                                // 000000008E70: 85153C24
	s_mov_b64 exec, s[20:21]                                   // 000000008E74: BEFE0114
	global_atomic_add_f32 v6, v48, s[8:9]                      // 000000008E78: DD348000 00083006
	global_atomic_add_f32 v6, v52, s[8:9] offset:256           // 000000008E80: DD348100 00083406
	global_atomic_add_f32 v6, v56, s[8:9] offset:512           // 000000008E88: DD348200 00083806
	global_atomic_add_f32 v6, v60, s[8:9] offset:768           // 000000008E90: DD348300 00083C06
	s_mov_b64 exec, s[36:37]                                   // 000000008E98: BEFE0124
	v_mov_b32_e32 v6, v39                                      // 000000008E9C: 7E0C0327
	s_mov_b64 s[60:61], 0                                      // 000000008EA0: BEBC0180
	v_readlane_b32 s82, v3, 2                                  // 000000008EA4: D2890052 00010503
	s_and_b32 s82, s82, 0xffffff                               // 000000008EAC: 8652FF52 00FFFFFF
	s_cmp_lt_u32 s82, s66                                      // 000000008EB4: BF0A4252
	s_cselect_b32 s20, s36, s60                                // 000000008EB8: 85143C24
	v_readlane_b32 s82, v3, 3                                  // 000000008EBC: D2890052 00010703
	s_and_b32 s82, s82, 0xffffff                               // 000000008EC4: 8652FF52 00FFFFFF
	s_cmp_lt_u32 s82, s66                                      // 000000008ECC: BF0A4252
	s_cselect_b32 s21, s36, s60                                // 000000008ED0: 85153C24
	s_mov_b64 exec, s[20:21]                                   // 000000008ED4: BEFE0114
	global_atomic_add_f32 v6, v49, s[8:9]                      // 000000008ED8: DD348000 00083106
	global_atomic_add_f32 v6, v53, s[8:9] offset:256           // 000000008EE0: DD348100 00083506
	global_atomic_add_f32 v6, v57, s[8:9] offset:512           // 000000008EE8: DD348200 00083906
	global_atomic_add_f32 v6, v61, s[8:9] offset:768           // 000000008EF0: DD348300 00083D06
	s_mov_b64 exec, s[36:37]                                   // 000000008EF8: BEFE0124
	v_mov_b32_e32 v6, v40                                      // 000000008EFC: 7E0C0328
	s_mov_b64 s[60:61], 0                                      // 000000008F00: BEBC0180
	v_readlane_b32 s82, v3, 4                                  // 000000008F04: D2890052 00010903
	s_and_b32 s82, s82, 0xffffff                               // 000000008F0C: 8652FF52 00FFFFFF
	s_cmp_lt_u32 s82, s66                                      // 000000008F14: BF0A4252
	s_cselect_b32 s20, s36, s60                                // 000000008F18: 85143C24
	v_readlane_b32 s82, v3, 5                                  // 000000008F1C: D2890052 00010B03
	s_and_b32 s82, s82, 0xffffff                               // 000000008F24: 8652FF52 00FFFFFF
	s_cmp_lt_u32 s82, s66                                      // 000000008F2C: BF0A4252
	s_cselect_b32 s21, s36, s60                                // 000000008F30: 85153C24
	s_mov_b64 exec, s[20:21]                                   // 000000008F34: BEFE0114
	global_atomic_add_f32 v6, v64, s[8:9]                      // 000000008F38: DD348000 00084006
	global_atomic_add_f32 v6, v68, s[8:9] offset:256           // 000000008F40: DD348100 00084406
	global_atomic_add_f32 v6, v72, s[8:9] offset:512           // 000000008F48: DD348200 00084806
	global_atomic_add_f32 v6, v76, s[8:9] offset:768           // 000000008F50: DD348300 00084C06
	s_mov_b64 exec, s[36:37]                                   // 000000008F58: BEFE0124
	v_mov_b32_e32 v6, v41                                      // 000000008F5C: 7E0C0329
	s_mov_b64 s[60:61], 0                                      // 000000008F60: BEBC0180
	v_readlane_b32 s82, v3, 6                                  // 000000008F64: D2890052 00010D03
	s_and_b32 s82, s82, 0xffffff                               // 000000008F6C: 8652FF52 00FFFFFF
	s_cmp_lt_u32 s82, s66                                      // 000000008F74: BF0A4252
	s_cselect_b32 s20, s36, s60                                // 000000008F78: 85143C24
	v_readlane_b32 s82, v3, 7                                  // 000000008F7C: D2890052 00010F03
	s_and_b32 s82, s82, 0xffffff                               // 000000008F84: 8652FF52 00FFFFFF
	s_cmp_lt_u32 s82, s66                                      // 000000008F8C: BF0A4252
	s_cselect_b32 s21, s36, s60                                // 000000008F90: 85153C24
	s_mov_b64 exec, s[20:21]                                   // 000000008F94: BEFE0114
	global_atomic_add_f32 v6, v65, s[8:9]                      // 000000008F98: DD348000 00084106
	global_atomic_add_f32 v6, v69, s[8:9] offset:256           // 000000008FA0: DD348100 00084506
	global_atomic_add_f32 v6, v73, s[8:9] offset:512           // 000000008FA8: DD348200 00084906
	global_atomic_add_f32 v6, v77, s[8:9] offset:768           // 000000008FB0: DD348300 00084D06
	s_mov_b64 exec, s[36:37]                                   // 000000008FB8: BEFE0124
	ds_write_b64 v20, v[50:51]                                 // 000000008FBC: D89A0000 00003214
	ds_write_b64 v20, v[54:55] offset:8704                     // 000000008FC4: D89A2200 00003614
	ds_write_b64 v20, v[58:59] offset:2176                     // 000000008FCC: D89A0880 00003A14
	ds_write_b64 v20, v[62:63] offset:10880                    // 000000008FD4: D89A2A80 00003E14
	ds_write_b64 v20, v[66:67] offset:4352                     // 000000008FDC: D89A1100 00004214
	ds_write_b64 v20, v[70:71] offset:13056                    // 000000008FE4: D89A3300 00004614
	ds_write_b64 v20, v[74:75] offset:6528                     // 000000008FEC: D89A1980 00004A14
	ds_write_b64 v20, v[78:79] offset:15232                    // 000000008FF4: D89A3B80 00004E14
	s_waitcnt lgkmcnt(0)                                       // 000000008FFC: BF8CC07F
	s_barrier                                                  // 000000009000: BF8A0000
	ds_read_b32 v50, v21                                       // 000000009004: D86C0000 32000015
	ds_read_b32 v51, v21 offset:64                             // 00000000900C: D86C0040 33000015
	ds_read_b32 v54, v21 offset:2176                           // 000000009014: D86C0880 36000015
	ds_read_b32 v55, v21 offset:2240                           // 00000000901C: D86C08C0 37000015
	ds_read_b32 v58, v21 offset:4352                           // 000000009024: D86C1100 3A000015
	ds_read_b32 v59, v21 offset:4416                           // 00000000902C: D86C1140 3B000015
	ds_read_b32 v62, v21 offset:6528                           // 000000009034: D86C1980 3E000015
	ds_read_b32 v63, v21 offset:6592                           // 00000000903C: D86C19C0 3F000015
	ds_read_b32 v66, v21 offset:8704                           // 000000009044: D86C2200 42000015
	ds_read_b32 v67, v21 offset:8768                           // 00000000904C: D86C2240 43000015
	ds_read_b32 v70, v21 offset:10880                          // 000000009054: D86C2A80 46000015
	ds_read_b32 v71, v21 offset:10944                          // 00000000905C: D86C2AC0 47000015
	ds_read_b32 v74, v21 offset:13056                          // 000000009064: D86C3300 4A000015
	ds_read_b32 v75, v21 offset:13120                          // 00000000906C: D86C3340 4B000015
	ds_read_b32 v78, v21 offset:15232                          // 000000009074: D86C3B80 4E000015
	ds_read_b32 v79, v21 offset:15296                          // 00000000907C: D86C3BC0 4F000015
	s_waitcnt lgkmcnt(0)                                       // 000000009084: BF8CC07F
	v_mov_b32_e32 v7, 0                                        // 000000009088: 7E0E0280
	s_mov_b64 exec, s[36:37]                                   // 00000000908C: BEFE0124
	v_mov_b32_e32 v6, v38                                      // 000000009090: 7E0C0326
	s_mov_b64 s[60:61], 0                                      // 000000009094: BEBC0180
	v_readlane_b32 s82, v3, 0                                  // 000000009098: D2890052 00010103
	s_and_b32 s82, s82, 0xffffff                               // 0000000090A0: 8652FF52 00FFFFFF
	s_cmp_lt_u32 s82, s66                                      // 0000000090A8: BF0A4252
	s_cselect_b32 s20, s36, s60                                // 0000000090AC: 85143C24
	v_readlane_b32 s82, v3, 1                                  // 0000000090B0: D2890052 00010303
	s_and_b32 s82, s82, 0xffffff                               // 0000000090B8: 8652FF52 00FFFFFF
	s_cmp_lt_u32 s82, s66                                      // 0000000090C0: BF0A4252
	s_cselect_b32 s21, s36, s60                                // 0000000090C4: 85153C24
	s_mov_b64 exec, s[20:21]                                   // 0000000090C8: BEFE0114
	global_atomic_add_f32 v6, v50, s[8:9] offset:8             // 0000000090CC: DD348008 00083206
	global_atomic_add_f32 v6, v54, s[8:9] offset:264           // 0000000090D4: DD348108 00083606
	global_atomic_add_f32 v6, v58, s[8:9] offset:520           // 0000000090DC: DD348208 00083A06
	global_atomic_add_f32 v6, v62, s[8:9] offset:776           // 0000000090E4: DD348308 00083E06
	s_mov_b64 exec, s[36:37]                                   // 0000000090EC: BEFE0124
	v_mov_b32_e32 v6, v39                                      // 0000000090F0: 7E0C0327
	s_mov_b64 s[60:61], 0                                      // 0000000090F4: BEBC0180
	v_readlane_b32 s82, v3, 2                                  // 0000000090F8: D2890052 00010503
	s_and_b32 s82, s82, 0xffffff                               // 000000009100: 8652FF52 00FFFFFF
	s_cmp_lt_u32 s82, s66                                      // 000000009108: BF0A4252
	s_cselect_b32 s20, s36, s60                                // 00000000910C: 85143C24
	v_readlane_b32 s82, v3, 3                                  // 000000009110: D2890052 00010703
	s_and_b32 s82, s82, 0xffffff                               // 000000009118: 8652FF52 00FFFFFF
	s_cmp_lt_u32 s82, s66                                      // 000000009120: BF0A4252
	s_cselect_b32 s21, s36, s60                                // 000000009124: 85153C24
	s_mov_b64 exec, s[20:21]                                   // 000000009128: BEFE0114
	global_atomic_add_f32 v6, v51, s[8:9] offset:8             // 00000000912C: DD348008 00083306
	global_atomic_add_f32 v6, v55, s[8:9] offset:264           // 000000009134: DD348108 00083706
	global_atomic_add_f32 v6, v59, s[8:9] offset:520           // 00000000913C: DD348208 00083B06
	global_atomic_add_f32 v6, v63, s[8:9] offset:776           // 000000009144: DD348308 00083F06
	s_mov_b64 exec, s[36:37]                                   // 00000000914C: BEFE0124
	v_mov_b32_e32 v6, v40                                      // 000000009150: 7E0C0328
	s_mov_b64 s[60:61], 0                                      // 000000009154: BEBC0180
	v_readlane_b32 s82, v3, 4                                  // 000000009158: D2890052 00010903
	s_and_b32 s82, s82, 0xffffff                               // 000000009160: 8652FF52 00FFFFFF
	s_cmp_lt_u32 s82, s66                                      // 000000009168: BF0A4252
	s_cselect_b32 s20, s36, s60                                // 00000000916C: 85143C24
	v_readlane_b32 s82, v3, 5                                  // 000000009170: D2890052 00010B03
	s_and_b32 s82, s82, 0xffffff                               // 000000009178: 8652FF52 00FFFFFF
	s_cmp_lt_u32 s82, s66                                      // 000000009180: BF0A4252
	s_cselect_b32 s21, s36, s60                                // 000000009184: 85153C24
	s_mov_b64 exec, s[20:21]                                   // 000000009188: BEFE0114
	global_atomic_add_f32 v6, v66, s[8:9] offset:8             // 00000000918C: DD348008 00084206
	global_atomic_add_f32 v6, v70, s[8:9] offset:264           // 000000009194: DD348108 00084606
	global_atomic_add_f32 v6, v74, s[8:9] offset:520           // 00000000919C: DD348208 00084A06
	global_atomic_add_f32 v6, v78, s[8:9] offset:776           // 0000000091A4: DD348308 00084E06
	s_mov_b64 exec, s[36:37]                                   // 0000000091AC: BEFE0124
	v_mov_b32_e32 v6, v41                                      // 0000000091B0: 7E0C0329
	s_mov_b64 s[60:61], 0                                      // 0000000091B4: BEBC0180
	v_readlane_b32 s82, v3, 6                                  // 0000000091B8: D2890052 00010D03
	s_and_b32 s82, s82, 0xffffff                               // 0000000091C0: 8652FF52 00FFFFFF
	s_cmp_lt_u32 s82, s66                                      // 0000000091C8: BF0A4252
	s_cselect_b32 s20, s36, s60                                // 0000000091CC: 85143C24
	v_readlane_b32 s82, v3, 7                                  // 0000000091D0: D2890052 00010F03
	s_and_b32 s82, s82, 0xffffff                               // 0000000091D8: 8652FF52 00FFFFFF
	s_cmp_lt_u32 s82, s66                                      // 0000000091E0: BF0A4252
	s_cselect_b32 s21, s36, s60                                // 0000000091E4: 85153C24
	s_mov_b64 exec, s[20:21]                                   // 0000000091E8: BEFE0114
	global_atomic_add_f32 v6, v67, s[8:9] offset:8             // 0000000091EC: DD348008 00084306
	global_atomic_add_f32 v6, v71, s[8:9] offset:264           // 0000000091F4: DD348108 00084706
	global_atomic_add_f32 v6, v75, s[8:9] offset:520           // 0000000091FC: DD348208 00084B06
	global_atomic_add_f32 v6, v79, s[8:9] offset:776           // 000000009204: DD348308 00084F06
	s_mov_b64 exec, s[36:37]                                   // 00000000920C: BEFE0124
	ds_write_b64 v20, v[80:81]                                 // 000000009210: D89A0000 00005014
	ds_write_b64 v20, v[84:85] offset:8704                     // 000000009218: D89A2200 00005414
	ds_write_b64 v20, v[88:89] offset:2176                     // 000000009220: D89A0880 00005814
	ds_write_b64 v20, v[92:93] offset:10880                    // 000000009228: D89A2A80 00005C14
	ds_write_b64 v20, v[96:97] offset:4352                     // 000000009230: D89A1100 00006014
	ds_write_b64 v20, v[100:101] offset:13056                  // 000000009238: D89A3300 00006414
	ds_write_b64 v20, v[104:105] offset:6528                   // 000000009240: D89A1980 00006814
	ds_write_b64 v20, v[108:109] offset:15232                  // 000000009248: D89A3B80 00006C14
	s_waitcnt lgkmcnt(0)                                       // 000000009250: BF8CC07F
	s_barrier                                                  // 000000009254: BF8A0000
	ds_read_b32 v80, v21                                       // 000000009258: D86C0000 50000015
	ds_read_b32 v81, v21 offset:64                             // 000000009260: D86C0040 51000015
	ds_read_b32 v84, v21 offset:2176                           // 000000009268: D86C0880 54000015
	ds_read_b32 v85, v21 offset:2240                           // 000000009270: D86C08C0 55000015
	ds_read_b32 v88, v21 offset:4352                           // 000000009278: D86C1100 58000015
	ds_read_b32 v89, v21 offset:4416                           // 000000009280: D86C1140 59000015
	ds_read_b32 v92, v21 offset:6528                           // 000000009288: D86C1980 5C000015
	ds_read_b32 v93, v21 offset:6592                           // 000000009290: D86C19C0 5D000015
	ds_read_b32 v96, v21 offset:8704                           // 000000009298: D86C2200 60000015
	ds_read_b32 v97, v21 offset:8768                           // 0000000092A0: D86C2240 61000015
	ds_read_b32 v100, v21 offset:10880                         // 0000000092A8: D86C2A80 64000015
	ds_read_b32 v101, v21 offset:10944                         // 0000000092B0: D86C2AC0 65000015
	ds_read_b32 v104, v21 offset:13056                         // 0000000092B8: D86C3300 68000015
	ds_read_b32 v105, v21 offset:13120                         // 0000000092C0: D86C3340 69000015
	ds_read_b32 v108, v21 offset:15232                         // 0000000092C8: D86C3B80 6C000015
	ds_read_b32 v109, v21 offset:15296                         // 0000000092D0: D86C3BC0 6D000015
	s_mul_i32 s60, s65, 4                                      // 0000000092D8: 923C8441
	s_add_u32 s8, s60, s8                                      // 0000000092DC: 8008083C
	s_addc_u32 s9, 0, s9                                       // 0000000092E0: 82090980
	s_waitcnt lgkmcnt(0)                                       // 0000000092E4: BF8CC07F
	v_mov_b32_e32 v7, 0                                        // 0000000092E8: 7E0E0280
	s_mov_b64 exec, s[36:37]                                   // 0000000092EC: BEFE0124
	v_mov_b32_e32 v6, v38                                      // 0000000092F0: 7E0C0326
	s_mov_b64 s[60:61], 0                                      // 0000000092F4: BEBC0180
	v_readlane_b32 s82, v3, 0                                  // 0000000092F8: D2890052 00010103
	s_and_b32 s82, s82, 0xffffff                               // 000000009300: 8652FF52 00FFFFFF
	s_cmp_lt_u32 s82, s66                                      // 000000009308: BF0A4252
	s_cselect_b32 s20, s36, s60                                // 00000000930C: 85143C24
	v_readlane_b32 s82, v3, 1                                  // 000000009310: D2890052 00010303
	s_and_b32 s82, s82, 0xffffff                               // 000000009318: 8652FF52 00FFFFFF
	s_cmp_lt_u32 s82, s66                                      // 000000009320: BF0A4252
	s_cselect_b32 s21, s36, s60                                // 000000009324: 85153C24
	s_mov_b64 exec, s[20:21]                                   // 000000009328: BEFE0114
	global_atomic_add_f32 v6, v80, s[8:9]                      // 00000000932C: DD348000 00085006
	global_atomic_add_f32 v6, v84, s[8:9] offset:256           // 000000009334: DD348100 00085406
	global_atomic_add_f32 v6, v88, s[8:9] offset:512           // 00000000933C: DD348200 00085806
	global_atomic_add_f32 v6, v92, s[8:9] offset:768           // 000000009344: DD348300 00085C06
	s_mov_b64 exec, s[36:37]                                   // 00000000934C: BEFE0124
	v_mov_b32_e32 v6, v39                                      // 000000009350: 7E0C0327
	s_mov_b64 s[60:61], 0                                      // 000000009354: BEBC0180
	v_readlane_b32 s82, v3, 2                                  // 000000009358: D2890052 00010503
	s_and_b32 s82, s82, 0xffffff                               // 000000009360: 8652FF52 00FFFFFF
	s_cmp_lt_u32 s82, s66                                      // 000000009368: BF0A4252
	s_cselect_b32 s20, s36, s60                                // 00000000936C: 85143C24
	v_readlane_b32 s82, v3, 3                                  // 000000009370: D2890052 00010703
	s_and_b32 s82, s82, 0xffffff                               // 000000009378: 8652FF52 00FFFFFF
	s_cmp_lt_u32 s82, s66                                      // 000000009380: BF0A4252
	s_cselect_b32 s21, s36, s60                                // 000000009384: 85153C24
	s_mov_b64 exec, s[20:21]                                   // 000000009388: BEFE0114
	global_atomic_add_f32 v6, v81, s[8:9]                      // 00000000938C: DD348000 00085106
	global_atomic_add_f32 v6, v85, s[8:9] offset:256           // 000000009394: DD348100 00085506
	global_atomic_add_f32 v6, v89, s[8:9] offset:512           // 00000000939C: DD348200 00085906
	global_atomic_add_f32 v6, v93, s[8:9] offset:768           // 0000000093A4: DD348300 00085D06
	s_mov_b64 exec, s[36:37]                                   // 0000000093AC: BEFE0124
	v_mov_b32_e32 v6, v40                                      // 0000000093B0: 7E0C0328
	s_mov_b64 s[60:61], 0                                      // 0000000093B4: BEBC0180
	v_readlane_b32 s82, v3, 4                                  // 0000000093B8: D2890052 00010903
	s_and_b32 s82, s82, 0xffffff                               // 0000000093C0: 8652FF52 00FFFFFF
	s_cmp_lt_u32 s82, s66                                      // 0000000093C8: BF0A4252
	s_cselect_b32 s20, s36, s60                                // 0000000093CC: 85143C24
	v_readlane_b32 s82, v3, 5                                  // 0000000093D0: D2890052 00010B03
	s_and_b32 s82, s82, 0xffffff                               // 0000000093D8: 8652FF52 00FFFFFF
	s_cmp_lt_u32 s82, s66                                      // 0000000093E0: BF0A4252
	s_cselect_b32 s21, s36, s60                                // 0000000093E4: 85153C24
	s_mov_b64 exec, s[20:21]                                   // 0000000093E8: BEFE0114
	global_atomic_add_f32 v6, v96, s[8:9]                      // 0000000093EC: DD348000 00086006
	global_atomic_add_f32 v6, v100, s[8:9] offset:256          // 0000000093F4: DD348100 00086406
	global_atomic_add_f32 v6, v104, s[8:9] offset:512          // 0000000093FC: DD348200 00086806
	global_atomic_add_f32 v6, v108, s[8:9] offset:768          // 000000009404: DD348300 00086C06
	s_mov_b64 exec, s[36:37]                                   // 00000000940C: BEFE0124
	v_mov_b32_e32 v6, v41                                      // 000000009410: 7E0C0329
	s_mov_b64 s[60:61], 0                                      // 000000009414: BEBC0180
	v_readlane_b32 s82, v3, 6                                  // 000000009418: D2890052 00010D03
	s_and_b32 s82, s82, 0xffffff                               // 000000009420: 8652FF52 00FFFFFF
	s_cmp_lt_u32 s82, s66                                      // 000000009428: BF0A4252
	s_cselect_b32 s20, s36, s60                                // 00000000942C: 85143C24
	v_readlane_b32 s82, v3, 7                                  // 000000009430: D2890052 00010F03
	s_and_b32 s82, s82, 0xffffff                               // 000000009438: 8652FF52 00FFFFFF
	s_cmp_lt_u32 s82, s66                                      // 000000009440: BF0A4252
	s_cselect_b32 s21, s36, s60                                // 000000009444: 85153C24
	s_mov_b64 exec, s[20:21]                                   // 000000009448: BEFE0114
	global_atomic_add_f32 v6, v97, s[8:9]                      // 00000000944C: DD348000 00086106
	global_atomic_add_f32 v6, v101, s[8:9] offset:256          // 000000009454: DD348100 00086506
	global_atomic_add_f32 v6, v105, s[8:9] offset:512          // 00000000945C: DD348200 00086906
	global_atomic_add_f32 v6, v109, s[8:9] offset:768          // 000000009464: DD348300 00086D06
	s_mov_b64 exec, s[36:37]                                   // 00000000946C: BEFE0124
	ds_write_b64 v20, v[82:83]                                 // 000000009470: D89A0000 00005214
	ds_write_b64 v20, v[86:87] offset:8704                     // 000000009478: D89A2200 00005614
	ds_write_b64 v20, v[90:91] offset:2176                     // 000000009480: D89A0880 00005A14
	ds_write_b64 v20, v[94:95] offset:10880                    // 000000009488: D89A2A80 00005E14
	ds_write_b64 v20, v[98:99] offset:4352                     // 000000009490: D89A1100 00006214
	ds_write_b64 v20, v[102:103] offset:13056                  // 000000009498: D89A3300 00006614
	ds_write_b64 v20, v[106:107] offset:6528                   // 0000000094A0: D89A1980 00006A14
	ds_write_b64 v20, v[110:111] offset:15232                  // 0000000094A8: D89A3B80 00006E14
	s_waitcnt lgkmcnt(0)                                       // 0000000094B0: BF8CC07F
	s_barrier                                                  // 0000000094B4: BF8A0000
	ds_read_b32 v82, v21                                       // 0000000094B8: D86C0000 52000015
	ds_read_b32 v83, v21 offset:64                             // 0000000094C0: D86C0040 53000015
	ds_read_b32 v86, v21 offset:2176                           // 0000000094C8: D86C0880 56000015
	ds_read_b32 v87, v21 offset:2240                           // 0000000094D0: D86C08C0 57000015
	ds_read_b32 v90, v21 offset:4352                           // 0000000094D8: D86C1100 5A000015
	ds_read_b32 v91, v21 offset:4416                           // 0000000094E0: D86C1140 5B000015
	ds_read_b32 v94, v21 offset:6528                           // 0000000094E8: D86C1980 5E000015
	ds_read_b32 v95, v21 offset:6592                           // 0000000094F0: D86C19C0 5F000015
	ds_read_b32 v98, v21 offset:8704                           // 0000000094F8: D86C2200 62000015
	ds_read_b32 v99, v21 offset:8768                           // 000000009500: D86C2240 63000015
	ds_read_b32 v102, v21 offset:10880                         // 000000009508: D86C2A80 66000015
	ds_read_b32 v103, v21 offset:10944                         // 000000009510: D86C2AC0 67000015
	ds_read_b32 v106, v21 offset:13056                         // 000000009518: D86C3300 6A000015
	ds_read_b32 v107, v21 offset:13120                         // 000000009520: D86C3340 6B000015
	ds_read_b32 v110, v21 offset:15232                         // 000000009528: D86C3B80 6E000015
	ds_read_b32 v111, v21 offset:15296                         // 000000009530: D86C3BC0 6F000015
	s_waitcnt lgkmcnt(0)                                       // 000000009538: BF8CC07F
	v_mov_b32_e32 v7, 0                                        // 00000000953C: 7E0E0280
	s_mov_b64 exec, s[36:37]                                   // 000000009540: BEFE0124
	v_mov_b32_e32 v6, v38                                      // 000000009544: 7E0C0326
	s_mov_b64 s[60:61], 0                                      // 000000009548: BEBC0180
	v_readlane_b32 s82, v3, 0                                  // 00000000954C: D2890052 00010103
	s_and_b32 s82, s82, 0xffffff                               // 000000009554: 8652FF52 00FFFFFF
	s_cmp_lt_u32 s82, s66                                      // 00000000955C: BF0A4252
	s_cselect_b32 s20, s36, s60                                // 000000009560: 85143C24
	v_readlane_b32 s82, v3, 1                                  // 000000009564: D2890052 00010303
	s_and_b32 s82, s82, 0xffffff                               // 00000000956C: 8652FF52 00FFFFFF
	s_cmp_lt_u32 s82, s66                                      // 000000009574: BF0A4252
	s_cselect_b32 s21, s36, s60                                // 000000009578: 85153C24
	s_mov_b64 exec, s[20:21]                                   // 00000000957C: BEFE0114
	global_atomic_add_f32 v6, v82, s[8:9] offset:8             // 000000009580: DD348008 00085206
	global_atomic_add_f32 v6, v86, s[8:9] offset:264           // 000000009588: DD348108 00085606
	global_atomic_add_f32 v6, v90, s[8:9] offset:520           // 000000009590: DD348208 00085A06
	global_atomic_add_f32 v6, v94, s[8:9] offset:776           // 000000009598: DD348308 00085E06
	s_mov_b64 exec, s[36:37]                                   // 0000000095A0: BEFE0124
	v_mov_b32_e32 v6, v39                                      // 0000000095A4: 7E0C0327
	s_mov_b64 s[60:61], 0                                      // 0000000095A8: BEBC0180
	v_readlane_b32 s82, v3, 2                                  // 0000000095AC: D2890052 00010503
	s_and_b32 s82, s82, 0xffffff                               // 0000000095B4: 8652FF52 00FFFFFF
	s_cmp_lt_u32 s82, s66                                      // 0000000095BC: BF0A4252
	s_cselect_b32 s20, s36, s60                                // 0000000095C0: 85143C24
	v_readlane_b32 s82, v3, 3                                  // 0000000095C4: D2890052 00010703
	s_and_b32 s82, s82, 0xffffff                               // 0000000095CC: 8652FF52 00FFFFFF
	s_cmp_lt_u32 s82, s66                                      // 0000000095D4: BF0A4252
	s_cselect_b32 s21, s36, s60                                // 0000000095D8: 85153C24
	s_mov_b64 exec, s[20:21]                                   // 0000000095DC: BEFE0114
	global_atomic_add_f32 v6, v83, s[8:9] offset:8             // 0000000095E0: DD348008 00085306
	global_atomic_add_f32 v6, v87, s[8:9] offset:264           // 0000000095E8: DD348108 00085706
	global_atomic_add_f32 v6, v91, s[8:9] offset:520           // 0000000095F0: DD348208 00085B06
	global_atomic_add_f32 v6, v95, s[8:9] offset:776           // 0000000095F8: DD348308 00085F06
	s_mov_b64 exec, s[36:37]                                   // 000000009600: BEFE0124
	v_mov_b32_e32 v6, v40                                      // 000000009604: 7E0C0328
	s_mov_b64 s[60:61], 0                                      // 000000009608: BEBC0180
	v_readlane_b32 s82, v3, 4                                  // 00000000960C: D2890052 00010903
	s_and_b32 s82, s82, 0xffffff                               // 000000009614: 8652FF52 00FFFFFF
	s_cmp_lt_u32 s82, s66                                      // 00000000961C: BF0A4252
	s_cselect_b32 s20, s36, s60                                // 000000009620: 85143C24
	v_readlane_b32 s82, v3, 5                                  // 000000009624: D2890052 00010B03
	s_and_b32 s82, s82, 0xffffff                               // 00000000962C: 8652FF52 00FFFFFF
	s_cmp_lt_u32 s82, s66                                      // 000000009634: BF0A4252
	s_cselect_b32 s21, s36, s60                                // 000000009638: 85153C24
	s_mov_b64 exec, s[20:21]                                   // 00000000963C: BEFE0114
	global_atomic_add_f32 v6, v98, s[8:9] offset:8             // 000000009640: DD348008 00086206
	global_atomic_add_f32 v6, v102, s[8:9] offset:264          // 000000009648: DD348108 00086606
	global_atomic_add_f32 v6, v106, s[8:9] offset:520          // 000000009650: DD348208 00086A06
	global_atomic_add_f32 v6, v110, s[8:9] offset:776          // 000000009658: DD348308 00086E06
	s_mov_b64 exec, s[36:37]                                   // 000000009660: BEFE0124
	v_mov_b32_e32 v6, v41                                      // 000000009664: 7E0C0329
	s_mov_b64 s[60:61], 0                                      // 000000009668: BEBC0180
	v_readlane_b32 s82, v3, 6                                  // 00000000966C: D2890052 00010D03
	s_and_b32 s82, s82, 0xffffff                               // 000000009674: 8652FF52 00FFFFFF
	s_cmp_lt_u32 s82, s66                                      // 00000000967C: BF0A4252
	s_cselect_b32 s20, s36, s60                                // 000000009680: 85143C24
	v_readlane_b32 s82, v3, 7                                  // 000000009684: D2890052 00010F03
	s_and_b32 s82, s82, 0xffffff                               // 00000000968C: 8652FF52 00FFFFFF
	s_cmp_lt_u32 s82, s66                                      // 000000009694: BF0A4252
	s_cselect_b32 s21, s36, s60                                // 000000009698: 85153C24
	s_mov_b64 exec, s[20:21]                                   // 00000000969C: BEFE0114
	global_atomic_add_f32 v6, v99, s[8:9] offset:8             // 0000000096A0: DD348008 00086306
	global_atomic_add_f32 v6, v103, s[8:9] offset:264          // 0000000096A8: DD348108 00086706
	global_atomic_add_f32 v6, v107, s[8:9] offset:520          // 0000000096B0: DD348208 00086B06
	global_atomic_add_f32 v6, v111, s[8:9] offset:776          // 0000000096B8: DD348308 00086F06
	s_mov_b64 exec, s[36:37]                                   // 0000000096C0: BEFE0124
	s_branch label_1B35                                        // 0000000096C4: BF820000

00000000000096c8 <label_1B35>:
	s_waitcnt vmcnt(0) expcnt(0) lgkmcnt(0)                    // 0000000096C8: BF8C0000
	s_endpgm                                                   // 0000000096CC: BF810000
